;; amdgpu-corpus repo=ROCm/rocFFT kind=compiled arch=gfx1201 opt=O3
	.text
	.amdgcn_target "amdgcn-amd-amdhsa--gfx1201"
	.amdhsa_code_object_version 6
	.protected	fft_rtc_fwd_len289_factors_17_17_wgs_119_tpt_17_dp_op_CI_CI_sbcc_twdbase8_2step_dirReg_intrinsicRead ; -- Begin function fft_rtc_fwd_len289_factors_17_17_wgs_119_tpt_17_dp_op_CI_CI_sbcc_twdbase8_2step_dirReg_intrinsicRead
	.globl	fft_rtc_fwd_len289_factors_17_17_wgs_119_tpt_17_dp_op_CI_CI_sbcc_twdbase8_2step_dirReg_intrinsicRead
	.p2align	8
	.type	fft_rtc_fwd_len289_factors_17_17_wgs_119_tpt_17_dp_op_CI_CI_sbcc_twdbase8_2step_dirReg_intrinsicRead,@function
fft_rtc_fwd_len289_factors_17_17_wgs_119_tpt_17_dp_op_CI_CI_sbcc_twdbase8_2step_dirReg_intrinsicRead: ; @fft_rtc_fwd_len289_factors_17_17_wgs_119_tpt_17_dp_op_CI_CI_sbcc_twdbase8_2step_dirReg_intrinsicRead
; %bb.0:
	s_clause 0x1
	s_load_b128 s[16:19], s[0:1], 0x18
	s_load_b64 s[22:23], s[0:1], 0x28
	s_mov_b32 s29, 0
	s_mov_b32 s2, 0x92481000
	s_movk_i32 s3, 0x64
	s_mov_b32 s28, s29
	v_mov_b32_e32 v2, v0
	s_add_nc_u64 s[2:3], s[28:29], s[2:3]
	s_mov_b64 s[20:21], 0
	s_add_co_i32 s3, s3, 0x249248c0
	s_delay_alu instid0(SALU_CYCLE_1) | instskip(NEXT) | instid1(SALU_CYCLE_1)
	s_mul_u64 s[4:5], s[2:3], -7
	s_mul_hi_u32 s7, s2, s5
	s_mul_i32 s6, s2, s5
	s_mul_hi_u32 s28, s2, s4
	s_mul_i32 s9, s3, s4
	s_add_nc_u64 s[6:7], s[28:29], s[6:7]
	s_mul_hi_u32 s8, s3, s4
	s_mul_hi_u32 s10, s3, s5
	s_wait_kmcnt 0x0
	s_load_b64 s[26:27], s[16:17], 0x8
	s_mul_i32 s4, s3, s5
	s_add_co_u32 s5, s6, s9
	s_add_co_ci_u32 s28, s7, s8
	s_add_co_ci_u32 s5, s10, 0
	s_delay_alu instid0(SALU_CYCLE_1) | instskip(NEXT) | instid1(SALU_CYCLE_1)
	s_add_nc_u64 s[4:5], s[28:29], s[4:5]
	v_add_co_u32 v0, s2, s2, s4
	s_delay_alu instid0(VALU_DEP_1) | instskip(SKIP_1) | instid1(VALU_DEP_1)
	s_cmp_lg_u32 s2, 0
	s_add_co_ci_u32 s6, s3, s5
	v_readfirstlane_b32 s7, v0
	s_wait_kmcnt 0x0
	s_add_nc_u64 s[2:3], s[26:27], -1
	s_wait_alu 0xfffe
	s_mul_hi_u32 s5, s2, s6
	s_mul_i32 s4, s2, s6
	s_mul_hi_u32 s28, s2, s7
	s_mul_hi_u32 s9, s3, s7
	s_mul_i32 s7, s3, s7
	s_wait_alu 0xfffe
	s_add_nc_u64 s[4:5], s[28:29], s[4:5]
	s_mul_hi_u32 s8, s3, s6
	s_wait_alu 0xfffe
	s_add_co_u32 s4, s4, s7
	s_add_co_ci_u32 s28, s5, s9
	s_mul_i32 s6, s3, s6
	s_add_co_ci_u32 s7, s8, 0
	s_delay_alu instid0(SALU_CYCLE_1) | instskip(SKIP_3) | instid1(SALU_CYCLE_1)
	s_add_nc_u64 s[4:5], s[28:29], s[6:7]
	s_mov_b32 s28, ttmp9
	s_wait_alu 0xfffe
	s_mul_u64 s[6:7], s[4:5], 7
	v_sub_co_u32 v0, s2, s2, s6
	s_delay_alu instid0(VALU_DEP_1) | instskip(SKIP_1) | instid1(VALU_DEP_1)
	s_cmp_lg_u32 s2, 0
	s_sub_co_ci_u32 s8, s3, s7
	v_sub_co_u32 v1, s6, v0, 7
	s_delay_alu instid0(VALU_DEP_1) | instskip(SKIP_2) | instid1(VALU_DEP_2)
	s_cmp_lg_u32 s6, 0
	v_readfirstlane_b32 s10, v0
	s_sub_co_ci_u32 s6, s8, 0
	v_readfirstlane_b32 s2, v1
	s_delay_alu instid0(VALU_DEP_1)
	s_cmp_gt_u32 s2, 6
	s_add_nc_u64 s[2:3], s[4:5], 1
	s_cselect_b32 s9, -1, 0
	s_wait_alu 0xfffe
	s_cmp_eq_u32 s6, 0
	s_add_nc_u64 s[6:7], s[4:5], 2
	s_cselect_b32 s9, s9, -1
	s_delay_alu instid0(SALU_CYCLE_1)
	s_cmp_lg_u32 s9, 0
	s_wait_alu 0xfffe
	s_cselect_b32 s2, s6, s2
	s_cselect_b32 s3, s7, s3
	s_cmp_gt_u32 s10, 6
	s_cselect_b32 s6, -1, 0
	s_cmp_eq_u32 s8, 0
	s_wait_alu 0xfffe
	s_cselect_b32 s6, s6, -1
	s_wait_alu 0xfffe
	s_cmp_lg_u32 s6, 0
	s_cselect_b32 s3, s3, s5
	s_cselect_b32 s2, s2, s4
	s_wait_alu 0xfffe
	s_add_nc_u64 s[30:31], s[2:3], 1
	s_delay_alu instid0(SALU_CYCLE_1) | instskip(NEXT) | instid1(VALU_DEP_1)
	v_cmp_lt_u64_e64 s2, s[28:29], s[30:31]
	s_and_b32 vcc_lo, exec_lo, s2
	s_cbranch_vccnz .LBB0_2
; %bb.1:
	v_cvt_f32_u32_e32 v0, s30
	s_sub_co_i32 s3, 0, s30
	s_mov_b32 s21, s29
	s_delay_alu instid0(VALU_DEP_1) | instskip(NEXT) | instid1(TRANS32_DEP_1)
	v_rcp_iflag_f32_e32 v0, v0
	v_mul_f32_e32 v0, 0x4f7ffffe, v0
	s_delay_alu instid0(VALU_DEP_1) | instskip(NEXT) | instid1(VALU_DEP_1)
	v_cvt_u32_f32_e32 v0, v0
	v_readfirstlane_b32 s2, v0
	s_wait_alu 0xfffe
	s_delay_alu instid0(VALU_DEP_1)
	s_mul_i32 s3, s3, s2
	s_wait_alu 0xfffe
	s_mul_hi_u32 s3, s2, s3
	s_wait_alu 0xfffe
	s_add_co_i32 s2, s2, s3
	s_wait_alu 0xfffe
	s_mul_hi_u32 s2, s28, s2
	s_wait_alu 0xfffe
	s_mul_i32 s3, s2, s30
	s_add_co_i32 s4, s2, 1
	s_wait_alu 0xfffe
	s_sub_co_i32 s3, s28, s3
	s_wait_alu 0xfffe
	s_sub_co_i32 s5, s3, s30
	s_cmp_ge_u32 s3, s30
	s_cselect_b32 s2, s4, s2
	s_wait_alu 0xfffe
	s_cselect_b32 s3, s5, s3
	s_add_co_i32 s4, s2, 1
	s_wait_alu 0xfffe
	s_cmp_ge_u32 s3, s30
	s_cselect_b32 s20, s4, s2
.LBB0_2:
	s_load_b128 s[8:11], s[0:1], 0x8
	s_load_b128 s[12:15], s[18:19], 0x0
	;; [unrolled: 1-line block ×3, first 2 shown]
	s_clause 0x1
	s_load_b64 s[48:49], s[0:1], 0x0
	s_load_b64 s[24:25], s[0:1], 0x60
	s_mul_u64 s[2:3], s[20:21], s[30:31]
	s_wait_alu 0xfffe
	s_sub_nc_u64 s[2:3], s[28:29], s[2:3]
	s_wait_alu 0xfffe
	s_mul_u64 s[36:37], s[2:3], 7
	s_wait_kmcnt 0x0
	v_cmp_lt_u64_e64 s13, s[10:11], 3
	s_mul_u64 s[34:35], s[14:15], s[36:37]
	s_mul_u64 s[2:3], s[6:7], s[36:37]
	s_delay_alu instid0(VALU_DEP_1)
	s_and_b32 vcc_lo, exec_lo, s13
	s_cbranch_vccnz .LBB0_12
; %bb.3:
	s_add_nc_u64 s[38:39], s[22:23], 16
	s_add_nc_u64 s[40:41], s[18:19], 16
	;; [unrolled: 1-line block ×3, first 2 shown]
	s_mov_b64 s[42:43], 2
	s_mov_b32 s44, 0
.LBB0_4:                                ; =>This Inner Loop Header: Depth=1
	s_load_b64 s[46:47], s[16:17], 0x0
                                        ; implicit-def: $sgpr52_sgpr53
	s_wait_kmcnt 0x0
	s_or_b64 s[50:51], s[20:21], s[46:47]
	s_delay_alu instid0(SALU_CYCLE_1)
	s_mov_b32 s45, s51
	s_mov_b32 s51, -1
	s_cmp_lg_u64 s[44:45], 0
	s_cbranch_scc0 .LBB0_6
; %bb.5:                                ;   in Loop: Header=BB0_4 Depth=1
	s_cvt_f32_u32 s13, s46
	s_cvt_f32_u32 s33, s47
	s_sub_nc_u64 s[54:55], 0, s[46:47]
	s_mov_b32 s51, 0
	s_mov_b32 s59, s44
	s_wait_alu 0xfffe
	s_fmamk_f32 s13, s33, 0x4f800000, s13
	s_wait_alu 0xfffe
	s_delay_alu instid0(SALU_CYCLE_2) | instskip(NEXT) | instid1(TRANS32_DEP_1)
	v_s_rcp_f32 s13, s13
	s_mul_f32 s13, s13, 0x5f7ffffc
	s_wait_alu 0xfffe
	s_delay_alu instid0(SALU_CYCLE_2) | instskip(NEXT) | instid1(SALU_CYCLE_3)
	s_mul_f32 s33, s13, 0x2f800000
	s_trunc_f32 s33, s33
	s_delay_alu instid0(SALU_CYCLE_3) | instskip(SKIP_2) | instid1(SALU_CYCLE_1)
	s_fmamk_f32 s13, s33, 0xcf800000, s13
	s_cvt_u32_f32 s53, s33
	s_wait_alu 0xfffe
	s_cvt_u32_f32 s52, s13
	s_wait_alu 0xfffe
	s_delay_alu instid0(SALU_CYCLE_2)
	s_mul_u64 s[56:57], s[54:55], s[52:53]
	s_wait_alu 0xfffe
	s_mul_hi_u32 s61, s52, s57
	s_mul_i32 s60, s52, s57
	s_mul_hi_u32 s50, s52, s56
	s_mul_i32 s33, s53, s56
	s_add_nc_u64 s[60:61], s[50:51], s[60:61]
	s_mul_hi_u32 s13, s53, s56
	s_mul_hi_u32 s45, s53, s57
	s_add_co_u32 s33, s60, s33
	s_wait_alu 0xfffe
	s_add_co_ci_u32 s58, s61, s13
	s_mul_i32 s56, s53, s57
	s_add_co_ci_u32 s57, s45, 0
	s_wait_alu 0xfffe
	s_add_nc_u64 s[56:57], s[58:59], s[56:57]
	s_wait_alu 0xfffe
	v_add_co_u32 v0, s13, s52, s56
	s_delay_alu instid0(VALU_DEP_1) | instskip(SKIP_1) | instid1(VALU_DEP_1)
	s_cmp_lg_u32 s13, 0
	s_add_co_ci_u32 s53, s53, s57
	v_readfirstlane_b32 s52, v0
	s_mov_b32 s57, s44
	s_wait_alu 0xfffe
	s_delay_alu instid0(VALU_DEP_1)
	s_mul_u64 s[54:55], s[54:55], s[52:53]
	s_wait_alu 0xfffe
	s_mul_hi_u32 s59, s52, s55
	s_mul_i32 s58, s52, s55
	s_mul_hi_u32 s50, s52, s54
	s_mul_i32 s33, s53, s54
	s_add_nc_u64 s[58:59], s[50:51], s[58:59]
	s_mul_hi_u32 s13, s53, s54
	s_mul_hi_u32 s45, s53, s55
	s_add_co_u32 s33, s58, s33
	s_wait_alu 0xfffe
	s_add_co_ci_u32 s56, s59, s13
	s_mul_i32 s54, s53, s55
	s_add_co_ci_u32 s55, s45, 0
	s_wait_alu 0xfffe
	s_add_nc_u64 s[54:55], s[56:57], s[54:55]
	s_wait_alu 0xfffe
	v_add_co_u32 v0, s13, v0, s54
	s_delay_alu instid0(VALU_DEP_1) | instskip(SKIP_1) | instid1(VALU_DEP_1)
	s_cmp_lg_u32 s13, 0
	s_add_co_ci_u32 s13, s53, s55
	v_readfirstlane_b32 s33, v0
	s_wait_alu 0xfffe
	s_mul_hi_u32 s53, s20, s13
	s_mul_i32 s52, s20, s13
	s_mul_hi_u32 s45, s21, s13
	s_mul_i32 s54, s21, s13
	;; [unrolled: 2-line block ×3, first 2 shown]
	s_wait_alu 0xfffe
	s_add_nc_u64 s[52:53], s[50:51], s[52:53]
	s_mul_hi_u32 s33, s21, s33
	s_wait_alu 0xfffe
	s_add_co_u32 s13, s52, s13
	s_add_co_ci_u32 s56, s53, s33
	s_add_co_ci_u32 s55, s45, 0
	s_wait_alu 0xfffe
	s_add_nc_u64 s[52:53], s[56:57], s[54:55]
	s_wait_alu 0xfffe
	s_mul_u64 s[54:55], s[46:47], s[52:53]
	s_add_nc_u64 s[56:57], s[52:53], 1
	s_wait_alu 0xfffe
	v_sub_co_u32 v0, s13, s20, s54
	s_sub_co_i32 s33, s21, s55
	s_cmp_lg_u32 s13, 0
	s_add_nc_u64 s[58:59], s[52:53], 2
	s_delay_alu instid0(VALU_DEP_1) | instskip(SKIP_2) | instid1(VALU_DEP_1)
	v_sub_co_u32 v1, s45, v0, s46
	s_sub_co_ci_u32 s33, s33, s47
	s_cmp_lg_u32 s45, 0
	v_readfirstlane_b32 s45, v1
	s_sub_co_ci_u32 s33, s33, 0
	s_delay_alu instid0(SALU_CYCLE_1) | instskip(SKIP_1) | instid1(VALU_DEP_1)
	s_cmp_ge_u32 s33, s47
	s_cselect_b32 s50, -1, 0
	s_cmp_ge_u32 s45, s46
	s_cselect_b32 s45, -1, 0
	s_cmp_eq_u32 s33, s47
	s_cselect_b32 s33, s45, s50
	s_delay_alu instid0(SALU_CYCLE_1)
	s_cmp_lg_u32 s33, 0
	s_cselect_b32 s33, s58, s56
	s_cselect_b32 s45, s59, s57
	s_cmp_lg_u32 s13, 0
	v_readfirstlane_b32 s13, v0
	s_sub_co_ci_u32 s50, s21, s55
	s_delay_alu instid0(SALU_CYCLE_1) | instskip(SKIP_1) | instid1(VALU_DEP_1)
	s_cmp_ge_u32 s50, s47
	s_cselect_b32 s54, -1, 0
	s_cmp_ge_u32 s13, s46
	s_cselect_b32 s13, -1, 0
	s_cmp_eq_u32 s50, s47
	s_wait_alu 0xfffe
	s_cselect_b32 s13, s13, s54
	s_wait_alu 0xfffe
	s_cmp_lg_u32 s13, 0
	s_cselect_b32 s53, s45, s53
	s_cselect_b32 s52, s33, s52
.LBB0_6:                                ;   in Loop: Header=BB0_4 Depth=1
	s_and_not1_b32 vcc_lo, exec_lo, s51
	s_cbranch_vccnz .LBB0_8
; %bb.7:                                ;   in Loop: Header=BB0_4 Depth=1
	v_cvt_f32_u32_e32 v0, s46
	s_sub_co_i32 s33, 0, s46
	s_mov_b32 s53, s44
	s_delay_alu instid0(VALU_DEP_1) | instskip(NEXT) | instid1(TRANS32_DEP_1)
	v_rcp_iflag_f32_e32 v0, v0
	v_mul_f32_e32 v0, 0x4f7ffffe, v0
	s_delay_alu instid0(VALU_DEP_1) | instskip(NEXT) | instid1(VALU_DEP_1)
	v_cvt_u32_f32_e32 v0, v0
	v_readfirstlane_b32 s13, v0
	s_delay_alu instid0(VALU_DEP_1) | instskip(NEXT) | instid1(SALU_CYCLE_1)
	s_mul_i32 s33, s33, s13
	s_mul_hi_u32 s33, s13, s33
	s_delay_alu instid0(SALU_CYCLE_1)
	s_add_co_i32 s13, s13, s33
	s_wait_alu 0xfffe
	s_mul_hi_u32 s13, s20, s13
	s_wait_alu 0xfffe
	s_mul_i32 s33, s13, s46
	s_add_co_i32 s45, s13, 1
	s_sub_co_i32 s33, s20, s33
	s_delay_alu instid0(SALU_CYCLE_1)
	s_sub_co_i32 s50, s33, s46
	s_cmp_ge_u32 s33, s46
	s_cselect_b32 s13, s45, s13
	s_cselect_b32 s33, s50, s33
	s_wait_alu 0xfffe
	s_add_co_i32 s45, s13, 1
	s_cmp_ge_u32 s33, s46
	s_cselect_b32 s52, s45, s13
.LBB0_8:                                ;   in Loop: Header=BB0_4 Depth=1
	s_load_b64 s[50:51], s[40:41], 0x0
	s_load_b64 s[54:55], s[38:39], 0x0
	s_add_nc_u64 s[42:43], s[42:43], 1
	s_mul_u64 s[30:31], s[46:47], s[30:31]
	s_wait_alu 0xfffe
	v_cmp_ge_u64_e64 s13, s[42:43], s[10:11]
	s_mul_u64 s[46:47], s[52:53], s[46:47]
	s_add_nc_u64 s[38:39], s[38:39], 8
	s_wait_alu 0xfffe
	s_sub_nc_u64 s[20:21], s[20:21], s[46:47]
	s_add_nc_u64 s[40:41], s[40:41], 8
	s_add_nc_u64 s[16:17], s[16:17], 8
	s_and_b32 vcc_lo, exec_lo, s13
	s_wait_kmcnt 0x0
	s_wait_alu 0xfffe
	s_mul_u64 s[46:47], s[50:51], s[20:21]
	s_mul_u64 s[20:21], s[54:55], s[20:21]
	s_wait_alu 0xfffe
	s_add_nc_u64 s[34:35], s[46:47], s[34:35]
	s_add_nc_u64 s[2:3], s[20:21], s[2:3]
	s_cbranch_vccnz .LBB0_10
; %bb.9:                                ;   in Loop: Header=BB0_4 Depth=1
	s_mov_b64 s[20:21], s[52:53]
	s_branch .LBB0_4
.LBB0_10:
	v_cmp_lt_u64_e64 s13, s[28:29], s[30:31]
	s_mov_b64 s[20:21], 0
	s_delay_alu instid0(VALU_DEP_1)
	s_and_b32 vcc_lo, exec_lo, s13
	s_cbranch_vccnz .LBB0_12
; %bb.11:
	v_cvt_f32_u32_e32 v0, s30
	s_sub_co_i32 s16, 0, s30
	s_mov_b32 s21, 0
	s_delay_alu instid0(VALU_DEP_1) | instskip(NEXT) | instid1(TRANS32_DEP_1)
	v_rcp_iflag_f32_e32 v0, v0
	v_mul_f32_e32 v0, 0x4f7ffffe, v0
	s_delay_alu instid0(VALU_DEP_1) | instskip(NEXT) | instid1(VALU_DEP_1)
	v_cvt_u32_f32_e32 v0, v0
	v_readfirstlane_b32 s13, v0
	s_delay_alu instid0(VALU_DEP_1) | instskip(NEXT) | instid1(SALU_CYCLE_1)
	s_mul_i32 s16, s16, s13
	s_mul_hi_u32 s16, s13, s16
	s_delay_alu instid0(SALU_CYCLE_1)
	s_add_co_i32 s13, s13, s16
	s_wait_alu 0xfffe
	s_mul_hi_u32 s13, s28, s13
	s_wait_alu 0xfffe
	s_mul_i32 s16, s13, s30
	s_add_co_i32 s17, s13, 1
	s_sub_co_i32 s16, s28, s16
	s_delay_alu instid0(SALU_CYCLE_1)
	s_sub_co_i32 s20, s16, s30
	s_cmp_ge_u32 s16, s30
	s_cselect_b32 s13, s17, s13
	s_wait_alu 0xfffe
	s_cselect_b32 s16, s20, s16
	s_add_co_i32 s17, s13, 1
	s_cmp_ge_u32 s16, s30
	s_cselect_b32 s20, s17, s13
.LBB0_12:
	v_mul_u32_u24_e32 v0, 0x2493, v2
	s_lshl_b64 s[10:11], s[10:11], 3
	s_load_b64 s[0:1], s[0:1], 0x68
	s_add_nc_u64 s[16:17], s[18:19], s[10:11]
	s_add_nc_u64 s[18:19], s[36:37], 7
	v_lshrrev_b32_e32 v255, 16, v0
	s_load_b64 s[16:17], s[16:17], 0x0
	v_mov_b32_e32 v7, 0
	s_delay_alu instid0(VALU_DEP_2) | instskip(NEXT) | instid1(VALU_DEP_1)
	v_mul_lo_u16 v0, v255, 7
	v_sub_nc_u16 v0, v2, v0
	s_delay_alu instid0(VALU_DEP_1)
	v_and_b32_e32 v0, 0xffff, v0
	s_clause 0x1
	scratch_store_b32 off, v2, off offset:188
	scratch_store_b32 off, v0, off
	v_mad_co_u64_u32 v[69:70], null, s14, v0, 0
	v_add_co_u32 v3, s13, s36, v0
	s_wait_alu 0xf1ff
	v_add_co_ci_u32_e64 v4, null, s37, 0, s13
	v_mov_b32_e32 v8, 0
	v_cmp_le_u64_e64 s13, s[18:19], s[26:27]
	v_mov_b32_e32 v1, v70
	s_delay_alu instid0(VALU_DEP_4) | instskip(SKIP_2) | instid1(VALU_DEP_4)
	v_cmp_gt_u64_e32 vcc_lo, s[26:27], v[3:4]
	v_mov_b32_e32 v105, v3
	v_dual_mov_b32 v3, v7 :: v_dual_mov_b32 v4, v8
	v_mad_co_u64_u32 v[1:2], null, s15, v0, v[1:2]
	v_dual_mov_b32 v1, v7 :: v_dual_mov_b32 v2, v8
	s_wait_kmcnt 0x0
	s_mul_u64 s[16:17], s[16:17], s[20:21]
	s_or_b32 s33, s13, vcc_lo
	s_add_nc_u64 s[14:15], s[16:17], s[34:35]
	s_and_saveexec_b32 s13, s33
	s_cbranch_execz .LBB0_14
; %bb.13:
	v_mul_lo_u32 v0, s12, v255
	v_mov_b32_e32 v2, 0
	s_wait_alu 0xfffe
	s_delay_alu instid0(VALU_DEP_2) | instskip(NEXT) | instid1(VALU_DEP_1)
	v_add3_u32 v1, s14, v69, v0
	v_lshlrev_b64_e32 v[1:2], 4, v[1:2]
	s_delay_alu instid0(VALU_DEP_1) | instskip(NEXT) | instid1(VALU_DEP_2)
	v_add_co_u32 v1, vcc_lo, s24, v1
	v_add_co_ci_u32_e32 v2, vcc_lo, s25, v2, vcc_lo
	global_load_b128 v[1:4], v[1:2], off
.LBB0_14:
	s_wait_alu 0xfffe
	s_or_b32 exec_lo, exec_lo, s13
	v_dual_mov_b32 v5, v7 :: v_dual_mov_b32 v6, v8
	s_and_saveexec_b32 s13, s33
	s_cbranch_execz .LBB0_16
; %bb.15:
	v_add_nc_u32_e32 v0, 17, v255
	v_mov_b32_e32 v6, 0
	s_delay_alu instid0(VALU_DEP_2) | instskip(NEXT) | instid1(VALU_DEP_1)
	v_mul_lo_u32 v0, s12, v0
	v_add3_u32 v5, s14, v69, v0
	s_delay_alu instid0(VALU_DEP_1) | instskip(NEXT) | instid1(VALU_DEP_1)
	v_lshlrev_b64_e32 v[5:6], 4, v[5:6]
	v_add_co_u32 v5, vcc_lo, s24, v5
	s_wait_alu 0xfffd
	s_delay_alu instid0(VALU_DEP_2)
	v_add_co_ci_u32_e32 v6, vcc_lo, s25, v6, vcc_lo
	global_load_b128 v[5:8], v[5:6], off
.LBB0_16:
	s_wait_alu 0xfffe
	s_or_b32 exec_lo, exec_lo, s13
	v_mov_b32_e32 v15, 0
	v_mov_b32_e32 v16, 0
	s_delay_alu instid0(VALU_DEP_2) | instskip(NEXT) | instid1(VALU_DEP_2)
	v_mov_b32_e32 v11, v15
	v_dual_mov_b32 v9, v15 :: v_dual_mov_b32 v10, v16
	v_mov_b32_e32 v12, v16
	s_and_saveexec_b32 s13, s33
	s_cbranch_execz .LBB0_18
; %bb.17:
	v_add_nc_u32_e32 v0, 34, v255
	v_mov_b32_e32 v10, 0
	s_delay_alu instid0(VALU_DEP_2) | instskip(NEXT) | instid1(VALU_DEP_1)
	v_mul_lo_u32 v0, s12, v0
	v_add3_u32 v9, s14, v69, v0
	s_delay_alu instid0(VALU_DEP_1) | instskip(NEXT) | instid1(VALU_DEP_1)
	v_lshlrev_b64_e32 v[9:10], 4, v[9:10]
	v_add_co_u32 v9, vcc_lo, s24, v9
	s_wait_alu 0xfffd
	s_delay_alu instid0(VALU_DEP_2)
	v_add_co_ci_u32_e32 v10, vcc_lo, s25, v10, vcc_lo
	global_load_b128 v[9:12], v[9:10], off
.LBB0_18:
	s_wait_alu 0xfffe
	s_or_b32 exec_lo, exec_lo, s13
	v_dual_mov_b32 v13, v15 :: v_dual_mov_b32 v14, v16
	s_and_saveexec_b32 s13, s33
	s_cbranch_execz .LBB0_20
; %bb.19:
	v_add_nc_u32_e32 v0, 51, v255
	v_mov_b32_e32 v14, 0
	s_delay_alu instid0(VALU_DEP_2) | instskip(NEXT) | instid1(VALU_DEP_1)
	v_mul_lo_u32 v0, s12, v0
	v_add3_u32 v13, s14, v69, v0
	s_delay_alu instid0(VALU_DEP_1) | instskip(NEXT) | instid1(VALU_DEP_1)
	v_lshlrev_b64_e32 v[13:14], 4, v[13:14]
	v_add_co_u32 v13, vcc_lo, s24, v13
	s_wait_alu 0xfffd
	s_delay_alu instid0(VALU_DEP_2)
	v_add_co_ci_u32_e32 v14, vcc_lo, s25, v14, vcc_lo
	global_load_b128 v[13:16], v[13:14], off
.LBB0_20:
	s_wait_alu 0xfffe
	s_or_b32 exec_lo, exec_lo, s13
	v_mov_b32_e32 v23, 0
	v_mov_b32_e32 v24, 0
	s_delay_alu instid0(VALU_DEP_2) | instskip(NEXT) | instid1(VALU_DEP_2)
	v_mov_b32_e32 v19, v23
	v_dual_mov_b32 v17, v23 :: v_dual_mov_b32 v18, v24
	v_mov_b32_e32 v20, v24
	s_and_saveexec_b32 s13, s33
	s_cbranch_execz .LBB0_22
; %bb.21:
	v_add_nc_u32_e32 v0, 0x44, v255
	v_mov_b32_e32 v18, 0
	s_delay_alu instid0(VALU_DEP_2) | instskip(NEXT) | instid1(VALU_DEP_1)
	v_mul_lo_u32 v0, s12, v0
	v_add3_u32 v17, s14, v69, v0
	s_delay_alu instid0(VALU_DEP_1) | instskip(NEXT) | instid1(VALU_DEP_1)
	v_lshlrev_b64_e32 v[17:18], 4, v[17:18]
	v_add_co_u32 v17, vcc_lo, s24, v17
	s_wait_alu 0xfffd
	s_delay_alu instid0(VALU_DEP_2)
	v_add_co_ci_u32_e32 v18, vcc_lo, s25, v18, vcc_lo
	global_load_b128 v[17:20], v[17:18], off
.LBB0_22:
	;; [unrolled: 43-line block ×3, first 2 shown]
	s_wait_alu 0xfffe
	s_or_b32 exec_lo, exec_lo, s13
	v_dual_mov_b32 v29, v31 :: v_dual_mov_b32 v30, v32
	s_and_saveexec_b32 s13, s33
	s_cbranch_execz .LBB0_28
; %bb.27:
	v_add_nc_u32_e32 v0, 0x77, v255
	v_mov_b32_e32 v30, 0
	s_delay_alu instid0(VALU_DEP_2) | instskip(NEXT) | instid1(VALU_DEP_1)
	v_mul_lo_u32 v0, s12, v0
	v_add3_u32 v29, s14, v69, v0
	s_delay_alu instid0(VALU_DEP_1) | instskip(NEXT) | instid1(VALU_DEP_1)
	v_lshlrev_b64_e32 v[29:30], 4, v[29:30]
	v_add_co_u32 v29, vcc_lo, s24, v29
	s_wait_alu 0xfffd
	s_delay_alu instid0(VALU_DEP_2)
	v_add_co_ci_u32_e32 v30, vcc_lo, s25, v30, vcc_lo
	global_load_b128 v[29:32], v[29:30], off
.LBB0_28:
	s_wait_alu 0xfffe
	s_or_b32 exec_lo, exec_lo, s13
	v_mov_b32_e32 v35, 0
	v_mov_b32_e32 v36, 0
	s_delay_alu instid0(VALU_DEP_1)
	v_dual_mov_b32 v40, v36 :: v_dual_mov_b32 v39, v35
	v_dual_mov_b32 v38, v36 :: v_dual_mov_b32 v37, v35
	s_and_saveexec_b32 s13, s33
	s_cbranch_execz .LBB0_30
; %bb.29:
	v_add_nc_u32_e32 v0, 0x88, v255
	v_mov_b32_e32 v34, 0
	s_delay_alu instid0(VALU_DEP_2) | instskip(NEXT) | instid1(VALU_DEP_1)
	v_mul_lo_u32 v0, s12, v0
	v_add3_u32 v33, s14, v69, v0
	s_delay_alu instid0(VALU_DEP_1) | instskip(NEXT) | instid1(VALU_DEP_1)
	v_lshlrev_b64_e32 v[33:34], 4, v[33:34]
	v_add_co_u32 v33, vcc_lo, s24, v33
	s_wait_alu 0xfffd
	s_delay_alu instid0(VALU_DEP_2)
	v_add_co_ci_u32_e32 v34, vcc_lo, s25, v34, vcc_lo
	global_load_b128 v[37:40], v[33:34], off
.LBB0_30:
	s_wait_alu 0xfffe
	s_or_b32 exec_lo, exec_lo, s13
	v_dual_mov_b32 v33, v35 :: v_dual_mov_b32 v34, v36
	s_and_saveexec_b32 s13, s33
	s_cbranch_execz .LBB0_32
; %bb.31:
	v_add_nc_u32_e32 v0, 0x99, v255
	v_mov_b32_e32 v34, 0
	s_delay_alu instid0(VALU_DEP_2) | instskip(NEXT) | instid1(VALU_DEP_1)
	v_mul_lo_u32 v0, s12, v0
	v_add3_u32 v33, s14, v69, v0
	s_delay_alu instid0(VALU_DEP_1) | instskip(NEXT) | instid1(VALU_DEP_1)
	v_lshlrev_b64_e32 v[33:34], 4, v[33:34]
	v_add_co_u32 v33, vcc_lo, s24, v33
	s_wait_alu 0xfffd
	s_delay_alu instid0(VALU_DEP_2)
	v_add_co_ci_u32_e32 v34, vcc_lo, s25, v34, vcc_lo
	global_load_b128 v[33:36], v[33:34], off
.LBB0_32:
	s_wait_alu 0xfffe
	s_or_b32 exec_lo, exec_lo, s13
	v_mov_b32_e32 v43, 0
	v_mov_b32_e32 v44, 0
	s_delay_alu instid0(VALU_DEP_1)
	v_dual_mov_b32 v48, v44 :: v_dual_mov_b32 v47, v43
	v_dual_mov_b32 v46, v44 :: v_dual_mov_b32 v45, v43
	s_and_saveexec_b32 s13, s33
	s_cbranch_execz .LBB0_34
; %bb.33:
	v_add_nc_u32_e32 v0, 0xaa, v255
	v_mov_b32_e32 v42, 0
	s_delay_alu instid0(VALU_DEP_2) | instskip(NEXT) | instid1(VALU_DEP_1)
	v_mul_lo_u32 v0, s12, v0
	v_add3_u32 v41, s14, v69, v0
	s_delay_alu instid0(VALU_DEP_1) | instskip(NEXT) | instid1(VALU_DEP_1)
	v_lshlrev_b64_e32 v[41:42], 4, v[41:42]
	v_add_co_u32 v41, vcc_lo, s24, v41
	s_wait_alu 0xfffd
	s_delay_alu instid0(VALU_DEP_2)
	v_add_co_ci_u32_e32 v42, vcc_lo, s25, v42, vcc_lo
	global_load_b128 v[45:48], v[41:42], off
.LBB0_34:
	s_wait_alu 0xfffe
	s_or_b32 exec_lo, exec_lo, s13
	v_dual_mov_b32 v41, v43 :: v_dual_mov_b32 v42, v44
	s_and_saveexec_b32 s13, s33
	s_cbranch_execz .LBB0_36
; %bb.35:
	v_add_nc_u32_e32 v0, 0xbb, v255
	v_mov_b32_e32 v42, 0
	s_delay_alu instid0(VALU_DEP_2) | instskip(NEXT) | instid1(VALU_DEP_1)
	v_mul_lo_u32 v0, s12, v0
	v_add3_u32 v41, s14, v69, v0
	s_delay_alu instid0(VALU_DEP_1) | instskip(NEXT) | instid1(VALU_DEP_1)
	v_lshlrev_b64_e32 v[41:42], 4, v[41:42]
	v_add_co_u32 v41, vcc_lo, s24, v41
	s_wait_alu 0xfffd
	s_delay_alu instid0(VALU_DEP_2)
	v_add_co_ci_u32_e32 v42, vcc_lo, s25, v42, vcc_lo
	global_load_b128 v[41:44], v[41:42], off
.LBB0_36:
	s_wait_alu 0xfffe
	s_or_b32 exec_lo, exec_lo, s13
	v_mov_b32_e32 v51, 0
	v_mov_b32_e32 v52, 0
	s_delay_alu instid0(VALU_DEP_1)
	v_dual_mov_b32 v56, v52 :: v_dual_mov_b32 v55, v51
	v_dual_mov_b32 v54, v52 :: v_dual_mov_b32 v53, v51
	s_and_saveexec_b32 s13, s33
	s_cbranch_execz .LBB0_38
; %bb.37:
	v_add_nc_u32_e32 v0, 0xcc, v255
	v_mov_b32_e32 v50, 0
	s_delay_alu instid0(VALU_DEP_2) | instskip(NEXT) | instid1(VALU_DEP_1)
	v_mul_lo_u32 v0, s12, v0
	v_add3_u32 v49, s14, v69, v0
	s_delay_alu instid0(VALU_DEP_1) | instskip(NEXT) | instid1(VALU_DEP_1)
	v_lshlrev_b64_e32 v[49:50], 4, v[49:50]
	v_add_co_u32 v49, vcc_lo, s24, v49
	s_wait_alu 0xfffd
	s_delay_alu instid0(VALU_DEP_2)
	v_add_co_ci_u32_e32 v50, vcc_lo, s25, v50, vcc_lo
	global_load_b128 v[53:56], v[49:50], off
.LBB0_38:
	s_wait_alu 0xfffe
	s_or_b32 exec_lo, exec_lo, s13
	v_dual_mov_b32 v49, v51 :: v_dual_mov_b32 v50, v52
	s_and_saveexec_b32 s13, s33
	s_cbranch_execz .LBB0_40
; %bb.39:
	v_add_nc_u32_e32 v0, 0xdd, v255
	v_mov_b32_e32 v50, 0
	s_delay_alu instid0(VALU_DEP_2) | instskip(NEXT) | instid1(VALU_DEP_1)
	v_mul_lo_u32 v0, s12, v0
	v_add3_u32 v49, s14, v69, v0
	s_delay_alu instid0(VALU_DEP_1) | instskip(NEXT) | instid1(VALU_DEP_1)
	v_lshlrev_b64_e32 v[49:50], 4, v[49:50]
	v_add_co_u32 v49, vcc_lo, s24, v49
	s_wait_alu 0xfffd
	s_delay_alu instid0(VALU_DEP_2)
	v_add_co_ci_u32_e32 v50, vcc_lo, s25, v50, vcc_lo
	global_load_b128 v[49:52], v[49:50], off
.LBB0_40:
	s_wait_alu 0xfffe
	s_or_b32 exec_lo, exec_lo, s13
	v_mov_b32_e32 v59, 0
	v_mov_b32_e32 v60, 0
	s_delay_alu instid0(VALU_DEP_1)
	v_dual_mov_b32 v64, v60 :: v_dual_mov_b32 v63, v59
	v_dual_mov_b32 v62, v60 :: v_dual_mov_b32 v61, v59
	s_and_saveexec_b32 s13, s33
	s_cbranch_execz .LBB0_42
; %bb.41:
	v_add_nc_u32_e32 v0, 0xee, v255
	v_mov_b32_e32 v58, 0
	s_delay_alu instid0(VALU_DEP_2) | instskip(NEXT) | instid1(VALU_DEP_1)
	v_mul_lo_u32 v0, s12, v0
	v_add3_u32 v57, s14, v69, v0
	s_delay_alu instid0(VALU_DEP_1) | instskip(NEXT) | instid1(VALU_DEP_1)
	v_lshlrev_b64_e32 v[57:58], 4, v[57:58]
	v_add_co_u32 v57, vcc_lo, s24, v57
	s_wait_alu 0xfffd
	s_delay_alu instid0(VALU_DEP_2)
	v_add_co_ci_u32_e32 v58, vcc_lo, s25, v58, vcc_lo
	global_load_b128 v[61:64], v[57:58], off
.LBB0_42:
	s_wait_alu 0xfffe
	s_or_b32 exec_lo, exec_lo, s13
	v_dual_mov_b32 v57, v59 :: v_dual_mov_b32 v58, v60
	s_and_saveexec_b32 s13, s33
	s_cbranch_execz .LBB0_44
; %bb.43:
	v_add_nc_u32_e32 v0, 0xff, v255
	v_mov_b32_e32 v58, 0
	s_delay_alu instid0(VALU_DEP_2) | instskip(NEXT) | instid1(VALU_DEP_1)
	v_mul_lo_u32 v0, s12, v0
	v_add3_u32 v57, s14, v69, v0
	s_delay_alu instid0(VALU_DEP_1) | instskip(NEXT) | instid1(VALU_DEP_1)
	v_lshlrev_b64_e32 v[57:58], 4, v[57:58]
	v_add_co_u32 v57, vcc_lo, s24, v57
	s_wait_alu 0xfffd
	s_delay_alu instid0(VALU_DEP_2)
	v_add_co_ci_u32_e32 v58, vcc_lo, s25, v58, vcc_lo
	global_load_b128 v[57:60], v[57:58], off
.LBB0_44:
	s_wait_alu 0xfffe
	s_or_b32 exec_lo, exec_lo, s13
	v_mov_b32_e32 v67, 0
	v_mov_b32_e32 v68, 0
	s_delay_alu instid0(VALU_DEP_2) | instskip(SKIP_1) | instid1(VALU_DEP_2)
	v_mov_b32_e32 v65, v67
	s_add_nc_u64 s[46:47], s[22:23], s[10:11]
	v_mov_b32_e32 v66, v68
	s_and_saveexec_b32 s10, s33
	s_cbranch_execz .LBB0_46
; %bb.45:
	v_add_nc_u32_e32 v0, 0x110, v255
	v_mov_b32_e32 v66, 0
	s_delay_alu instid0(VALU_DEP_2) | instskip(NEXT) | instid1(VALU_DEP_1)
	v_mul_lo_u32 v0, s12, v0
	v_add3_u32 v65, s14, v69, v0
	s_delay_alu instid0(VALU_DEP_1) | instskip(NEXT) | instid1(VALU_DEP_1)
	v_lshlrev_b64_e32 v[65:66], 4, v[65:66]
	v_add_co_u32 v65, vcc_lo, s24, v65
	s_wait_alu 0xfffd
	s_delay_alu instid0(VALU_DEP_2)
	v_add_co_ci_u32_e32 v66, vcc_lo, s25, v66, vcc_lo
	global_load_b128 v[65:68], v[65:66], off
.LBB0_46:
	s_wait_alu 0xfffe
	s_or_b32 exec_lo, exec_lo, s10
	s_wait_loadcnt 0x0
	v_add_f64_e32 v[69:70], v[1:2], v[5:6]
	v_add_f64_e32 v[71:72], v[3:4], v[7:8]
	;; [unrolled: 1-line block ×3, first 2 shown]
	v_add_f64_e64 v[126:127], v[37:38], -v[33:34]
	v_add_f64_e32 v[136:137], v[25:26], v[41:42]
	v_add_f64_e64 v[134:135], v[25:26], -v[41:42]
	v_add_f64_e32 v[132:133], v[29:30], v[45:46]
	;; [unrolled: 2-line block ×6, first 2 shown]
	v_add_f64_e64 v[176:177], v[9:10], -v[57:58]
	s_mov_b32 s10, 0x370991
	s_mov_b32 s16, 0x75d4884
	s_mov_b32 s24, 0x2b2883cd
	s_mov_b32 s34, 0x3259b75e
	s_mov_b32 s30, 0xc61f0d01
	s_mov_b32 s26, 0x6ed5f1bb
	s_mov_b32 s22, 0x910ea3b9
	s_mov_b32 s14, 0x7faef3
	s_mov_b32 s11, 0x3fedd6d0
	s_mov_b32 s17, 0x3fe7a5f6
	s_mov_b32 s25, 0x3fdc86fa
	s_mov_b32 s35, 0x3fb79ee6
	s_mov_b32 s31, 0xbfd183b1
	s_mov_b32 s27, 0xbfe348c8
	s_mov_b32 s23, 0xbfeb34fa
	s_mov_b32 s15, 0xbfef7484
	s_mov_b32 s12, 0x5d8e7cdc
	s_mov_b32 s18, 0x2a9d6da3
	s_mov_b32 s28, 0x7c9e640b
	s_mov_b32 s44, 0xeb564b22
	s_mov_b32 s56, 0x923c349f
	s_mov_b32 s52, 0x6c9a05f6
	v_add_f64_e32 v[69:70], v[69:70], v[9:10]
	v_add_f64_e32 v[71:72], v[71:72], v[11:12]
	s_mov_b32 s62, 0x4363dd80
	s_mov_b32 s64, 0xacd6c6b4
	;; [unrolled: 1-line block ×18, first 2 shown]
	s_wait_alu 0xfffe
	s_mov_b32 s54, s12
	s_mov_b32 s58, s18
	;; [unrolled: 1-line block ×8, first 2 shown]
	v_mul_f64_e32 v[110:111], s[22:23], v[140:141]
	v_mul_f64_e32 v[112:113], s[62:63], v[138:139]
	;; [unrolled: 1-line block ×10, first 2 shown]
	v_add_f64_e32 v[69:70], v[69:70], v[13:14]
	v_add_f64_e32 v[71:72], v[71:72], v[15:16]
	v_mul_f64_e32 v[158:159], s[16:17], v[140:141]
	v_mul_f64_e32 v[160:161], s[18:19], v[138:139]
	;; [unrolled: 1-line block ×3, first 2 shown]
	s_wait_alu 0xfffe
	v_mul_f64_e32 v[164:165], s[54:55], v[134:135]
	v_mul_f64_e32 v[166:167], s[34:35], v[132:133]
	;; [unrolled: 1-line block ×25, first 2 shown]
	v_add_f64_e32 v[69:70], v[69:70], v[17:18]
	v_add_f64_e32 v[71:72], v[71:72], v[19:20]
	s_delay_alu instid0(VALU_DEP_2) | instskip(NEXT) | instid1(VALU_DEP_2)
	v_add_f64_e32 v[69:70], v[69:70], v[21:22]
	v_add_f64_e32 v[71:72], v[71:72], v[23:24]
	s_delay_alu instid0(VALU_DEP_2) | instskip(NEXT) | instid1(VALU_DEP_2)
	v_add_f64_e32 v[69:70], v[69:70], v[25:26]
	v_add_f64_e32 v[71:72], v[71:72], v[27:28]
	v_add_f64_e64 v[25:26], v[27:28], -v[43:44]
	s_delay_alu instid0(VALU_DEP_3) | instskip(NEXT) | instid1(VALU_DEP_3)
	v_add_f64_e32 v[69:70], v[69:70], v[29:30]
	v_add_f64_e32 v[73:74], v[71:72], v[31:32]
	v_add_f64_e64 v[29:30], v[31:32], -v[47:48]
	s_delay_alu instid0(VALU_DEP_3) | instskip(NEXT) | instid1(VALU_DEP_3)
	v_add_f64_e32 v[71:72], v[69:70], v[37:38]
	v_add_f64_e32 v[73:74], v[73:74], v[39:40]
	;; [unrolled: 1-line block ×3, first 2 shown]
	v_add_f64_e64 v[37:38], v[39:40], -v[35:36]
	s_delay_alu instid0(VALU_DEP_4) | instskip(NEXT) | instid1(VALU_DEP_4)
	v_add_f64_e32 v[39:40], v[71:72], v[33:34]
	v_add_f64_e32 v[35:36], v[73:74], v[35:36]
	v_add_f64_e32 v[33:34], v[31:32], v[47:48]
	v_add_f64_e32 v[31:32], v[27:28], v[43:44]
	v_add_f64_e32 v[27:28], v[23:24], v[55:56]
	v_add_f64_e32 v[39:40], v[39:40], v[45:46]
	v_add_f64_e32 v[35:36], v[35:36], v[47:48]
	v_add_f64_e64 v[45:46], v[15:16], -v[63:64]
	v_add_f64_e32 v[47:48], v[11:12], v[59:60]
	s_delay_alu instid0(VALU_DEP_4) | instskip(NEXT) | instid1(VALU_DEP_4)
	v_add_f64_e32 v[39:40], v[39:40], v[41:42]
	v_add_f64_e32 v[41:42], v[35:36], v[43:44]
	v_add_f64_e64 v[35:36], v[23:24], -v[55:56]
	v_add_f64_e32 v[43:44], v[15:16], v[63:64]
	s_delay_alu instid0(VALU_DEP_4) | instskip(NEXT) | instid1(VALU_DEP_4)
	v_add_f64_e32 v[21:22], v[39:40], v[53:54]
	v_add_f64_e32 v[23:24], v[41:42], v[55:56]
	;; [unrolled: 1-line block ×3, first 2 shown]
	v_add_f64_e64 v[41:42], v[19:20], -v[51:52]
	s_delay_alu instid0(VALU_DEP_4) | instskip(NEXT) | instid1(VALU_DEP_4)
	v_add_f64_e32 v[17:18], v[21:22], v[49:50]
	v_add_f64_e32 v[19:20], v[23:24], v[51:52]
	v_add_f64_e64 v[49:50], v[11:12], -v[59:60]
	s_delay_alu instid0(VALU_DEP_3) | instskip(NEXT) | instid1(VALU_DEP_3)
	v_add_f64_e32 v[13:14], v[17:18], v[61:62]
	v_add_f64_e32 v[15:16], v[19:20], v[63:64]
	v_add_f64_e64 v[17:18], v[5:6], -v[65:66]
	v_add_f64_e64 v[19:20], v[7:8], -v[67:68]
	s_delay_alu instid0(VALU_DEP_4) | instskip(NEXT) | instid1(VALU_DEP_4)
	v_add_f64_e32 v[9:10], v[13:14], v[57:58]
	v_add_f64_e32 v[11:12], v[15:16], v[59:60]
	;; [unrolled: 1-line block ×4, first 2 shown]
	v_mul_f64_e32 v[81:82], s[42:43], v[17:18]
	v_mul_f64_e32 v[83:84], s[40:41], v[17:18]
	;; [unrolled: 1-line block ×3, first 2 shown]
	v_add_f64_e32 v[182:183], v[9:10], v[65:66]
	v_add_f64_e32 v[184:185], v[11:12], v[67:68]
	v_mul_f64_e32 v[9:10], s[10:11], v[13:14]
	v_mul_f64_e32 v[11:12], s[16:17], v[13:14]
	;; [unrolled: 1-line block ×8, first 2 shown]
	v_fma_f64 v[101:102], v[15:16], s[30:31], v[81:82]
	v_fma_f64 v[81:82], v[15:16], s[30:31], -v[81:82]
	v_fma_f64 v[103:104], v[15:16], s[26:27], v[83:84]
	v_fma_f64 v[83:84], v[15:16], s[26:27], -v[83:84]
	v_fma_f64 v[106:107], v[15:16], s[22:23], v[85:86]
	v_fma_f64 v[85:86], v[15:16], s[22:23], -v[85:86]
	v_fma_f64 v[57:58], v[19:20], s[12:13], v[9:10]
	v_fma_f64 v[9:10], v[19:20], s[54:55], v[9:10]
	;; [unrolled: 1-line block ×16, first 2 shown]
	v_mul_f64_e32 v[19:20], s[54:55], v[17:18]
	v_mul_f64_e32 v[51:52], s[58:59], v[17:18]
	;; [unrolled: 1-line block ×5, first 2 shown]
	v_add_f64_e32 v[189:190], v[3:4], v[101:102]
	v_add_f64_e32 v[193:194], v[3:4], v[103:104]
	v_add_f64_e32 v[197:198], v[3:4], v[83:84]
	v_add_f64_e32 v[201:202], v[3:4], v[106:107]
	v_add_f64_e32 v[205:206], v[3:4], v[85:86]
	v_mul_f64_e32 v[83:84], s[38:39], v[130:131]
	v_mul_f64_e32 v[85:86], s[14:15], v[128:129]
	;; [unrolled: 1-line block ×5, first 2 shown]
	v_add_f64_e32 v[5:6], v[1:2], v[9:10]
	v_add_f64_e32 v[9:10], v[1:2], v[59:60]
	;; [unrolled: 1-line block ×8, first 2 shown]
	v_mul_f64_e32 v[79:80], s[40:41], v[134:135]
	v_fma_f64 v[87:88], v[15:16], s[10:11], v[19:20]
	v_fma_f64 v[19:20], v[15:16], s[10:11], -v[19:20]
	v_fma_f64 v[91:92], v[15:16], s[16:17], -v[51:52]
	;; [unrolled: 1-line block ×4, first 2 shown]
	v_fma_f64 v[89:90], v[15:16], s[16:17], v[51:52]
	v_fma_f64 v[93:94], v[15:16], s[24:25], v[53:54]
	;; [unrolled: 1-line block ×4, first 2 shown]
	v_fma_f64 v[15:16], v[15:16], s[14:15], -v[17:18]
	v_add_f64_e32 v[17:18], v[1:2], v[57:58]
	v_mul_f64_e32 v[71:72], s[30:31], v[150:151]
	scratch_store_b64 off, v[5:6], off offset:4 ; 8-byte Folded Spill
	v_add_f64_e32 v[87:88], v[3:4], v[87:88]
	v_add_f64_e32 v[5:6], v[3:4], v[19:20]
	;; [unrolled: 1-line block ×6, first 2 shown]
	v_mul_f64_e32 v[97:98], s[34:35], v[178:179]
	v_mul_f64_e32 v[108:109], s[36:37], v[146:147]
	scratch_store_b64 off, v[5:6], off offset:20 ; 8-byte Folded Spill
	v_add_f64_e32 v[5:6], v[1:2], v[11:12]
	scratch_store_b64 off, v[5:6], off offset:36 ; 8-byte Folded Spill
	v_add_f64_e32 v[5:6], v[3:4], v[91:92]
	;; [unrolled: 2-line block ×3, first 2 shown]
	v_add_f64_e32 v[21:22], v[1:2], v[63:64]
	scratch_store_b64 off, v[5:6], off offset:132 ; 8-byte Folded Spill
	v_add_f64_e32 v[5:6], v[3:4], v[95:96]
	scratch_store_b64 off, v[5:6], off offset:124 ; 8-byte Folded Spill
	v_add_f64_e32 v[5:6], v[1:2], v[23:24]
	v_add_f64_e32 v[23:24], v[1:2], v[65:66]
	scratch_store_b64 off, v[5:6], off offset:148 ; 8-byte Folded Spill
	v_add_f64_e32 v[5:6], v[3:4], v[99:100]
	v_mul_f64_e32 v[99:100], s[50:51], v[176:177]
	scratch_store_b64 off, v[5:6], off offset:140 ; 8-byte Folded Spill
	v_add_f64_e32 v[5:6], v[1:2], v[67:68]
	v_add_f64_e32 v[0:1], v[1:2], v[13:14]
	v_fma_f64 v[13:14], v[45:46], s[52:53], v[101:102]
	v_mul_f64_e32 v[67:68], s[64:65], v[170:171]
	s_clause 0x1
	scratch_store_b64 off, v[5:6], off offset:164
	scratch_store_b64 off, v[0:1], off offset:180
	v_add_f64_e32 v[5:6], v[3:4], v[81:82]
	v_add_f64_e32 v[0:1], v[3:4], v[15:16]
	v_mul_f64_e32 v[3:4], s[58:59], v[176:177]
	v_mul_f64_e32 v[81:82], s[22:23], v[132:133]
	s_clause 0x1
	scratch_store_b64 off, v[5:6], off offset:156
	scratch_store_b64 off, v[0:1], off offset:172
	v_mul_f64_e32 v[0:1], s[16:17], v[178:179]
	v_mul_f64_e32 v[5:6], s[24:25], v[172:173]
	scratch_store_b64 off, v[3:4], off offset:52 ; 8-byte Folded Spill
	v_fma_f64 v[3:4], v[47:48], s[16:17], v[3:4]
	scratch_store_b64 off, v[0:1], off offset:44 ; 8-byte Folded Spill
	v_fma_f64 v[1:2], v[49:50], s[18:19], v[0:1]
	;; [unrolled: 2-line block ×3, first 2 shown]
	v_mul_f64_e32 v[5:6], s[60:61], v[170:171]
	v_add_f64_e32 v[3:4], v[3:4], v[87:88]
	v_mul_f64_e32 v[87:88], s[36:37], v[126:127]
	v_add_f64_e32 v[1:2], v[1:2], v[17:18]
	scratch_store_b64 off, v[5:6], off offset:76 ; 8-byte Folded Spill
	v_add_f64_e32 v[1:2], v[11:12], v[1:2]
	v_fma_f64 v[11:12], v[43:44], s[24:25], v[5:6]
	v_mul_f64_e32 v[5:6], s[34:35], v[150:151]
	s_delay_alu instid0(VALU_DEP_2) | instskip(SKIP_3) | instid1(VALU_DEP_2)
	v_add_f64_e32 v[3:4], v[11:12], v[3:4]
	scratch_store_b64 off, v[5:6], off offset:84 ; 8-byte Folded Spill
	v_fma_f64 v[11:12], v[41:42], s[44:45], v[5:6]
	v_mul_f64_e32 v[5:6], s[50:51], v[146:147]
	v_add_f64_e32 v[1:2], v[11:12], v[1:2]
	scratch_store_b64 off, v[5:6], off offset:92 ; 8-byte Folded Spill
	v_fma_f64 v[11:12], v[39:40], s[34:35], v[5:6]
	v_mul_f64_e32 v[5:6], s[30:31], v[140:141]
	s_delay_alu instid0(VALU_DEP_2) | instskip(SKIP_3) | instid1(VALU_DEP_2)
	v_add_f64_e32 v[3:4], v[11:12], v[3:4]
	scratch_store_b64 off, v[5:6], off offset:100 ; 8-byte Folded Spill
	v_fma_f64 v[11:12], v[35:36], s[56:57], v[5:6]
	v_mul_f64_e32 v[5:6], s[42:43], v[138:139]
	v_add_f64_e32 v[1:2], v[11:12], v[1:2]
	scratch_store_b64 off, v[5:6], off offset:108 ; 8-byte Folded Spill
	v_fma_f64 v[11:12], v[27:28], s[30:31], v[5:6]
	v_mul_f64_e32 v[5:6], s[26:27], v[136:137]
	s_delay_alu instid0(VALU_DEP_2) | instskip(NEXT) | instid1(VALU_DEP_2)
	v_add_f64_e32 v[3:4], v[11:12], v[3:4]
	v_fma_f64 v[11:12], v[25:26], s[52:53], v[5:6]
	scratch_store_b64 off, v[5:6], off offset:116 ; 8-byte Folded Spill
	v_mul_f64_e32 v[6:7], s[36:37], v[138:139]
	v_add_f64_e32 v[1:2], v[11:12], v[1:2]
	v_fma_f64 v[11:12], v[31:32], s[26:27], v[79:80]
	s_delay_alu instid0(VALU_DEP_1) | instskip(SKIP_1) | instid1(VALU_DEP_1)
	v_add_f64_e32 v[3:4], v[11:12], v[3:4]
	v_fma_f64 v[11:12], v[29:30], s[62:63], v[81:82]
	v_add_f64_e32 v[1:2], v[11:12], v[1:2]
	v_fma_f64 v[11:12], v[33:34], s[22:23], v[83:84]
	s_delay_alu instid0(VALU_DEP_1) | instskip(SKIP_1) | instid1(VALU_DEP_1)
	v_add_f64_e32 v[3:4], v[11:12], v[3:4]
	v_fma_f64 v[11:12], v[37:38], s[64:65], v[85:86]
	v_add_f64_e32 v[63:64], v[11:12], v[1:2]
	v_fma_f64 v[11:12], v[69:70], s[14:15], v[87:88]
	v_mul_f64_e32 v[0:1], s[54:55], v[170:171]
	s_delay_alu instid0(VALU_DEP_2) | instskip(SKIP_2) | instid1(VALU_DEP_2)
	v_add_f64_e32 v[65:66], v[11:12], v[3:4]
	v_fma_f64 v[11:12], v[49:50], s[44:45], v[97:98]
	v_mul_f64_e32 v[4:5], s[14:15], v[140:141]
	v_add_f64_e32 v[9:10], v[11:12], v[9:10]
	v_fma_f64 v[11:12], v[47:48], s[34:35], v[99:100]
	s_delay_alu instid0(VALU_DEP_3) | instskip(SKIP_1) | instid1(VALU_DEP_4)
	v_fma_f64 v[2:3], v[35:36], s[64:65], v[4:5]
	v_fma_f64 v[4:5], v[35:36], s[36:37], v[4:5]
	v_add_f64_e32 v[9:10], v[13:14], v[9:10]
	s_delay_alu instid0(VALU_DEP_4) | instskip(SKIP_2) | instid1(VALU_DEP_2)
	v_add_f64_e32 v[11:12], v[11:12], v[19:20]
	v_fma_f64 v[13:14], v[43:44], s[26:27], v[103:104]
	v_fma_f64 v[19:20], v[47:48], s[14:15], v[217:218]
	v_add_f64_e32 v[11:12], v[13:14], v[11:12]
	v_fma_f64 v[13:14], v[41:42], s[64:65], v[106:107]
	s_delay_alu instid0(VALU_DEP_3) | instskip(SKIP_1) | instid1(VALU_DEP_3)
	v_add_f64_e32 v[19:20], v[19:20], v[187:188]
	v_fma_f64 v[187:188], v[45:46], s[58:59], v[249:250]
	v_add_f64_e32 v[9:10], v[13:14], v[9:10]
	v_fma_f64 v[13:14], v[39:40], s[14:15], v[108:109]
	s_delay_alu instid0(VALU_DEP_1) | instskip(SKIP_1) | instid1(VALU_DEP_1)
	v_add_f64_e32 v[11:12], v[13:14], v[11:12]
	v_fma_f64 v[13:14], v[35:36], s[38:39], v[110:111]
	v_add_f64_e32 v[9:10], v[13:14], v[9:10]
	v_fma_f64 v[13:14], v[27:28], s[22:23], v[112:113]
	s_delay_alu instid0(VALU_DEP_1) | instskip(SKIP_1) | instid1(VALU_DEP_1)
	;; [unrolled: 5-line block ×4, first 2 shown]
	v_add_f64_e32 v[11:12], v[13:14], v[11:12]
	v_fma_f64 v[13:14], v[37:38], s[54:55], v[122:123]
	v_add_f64_e32 v[152:153], v[13:14], v[9:10]
	v_fma_f64 v[13:14], v[69:70], s[10:11], v[124:125]
	v_mul_f64_e32 v[8:9], s[34:35], v[136:137]
	s_delay_alu instid0(VALU_DEP_2) | instskip(SKIP_2) | instid1(VALU_DEP_2)
	v_add_f64_e32 v[154:155], v[13:14], v[11:12]
	v_fma_f64 v[13:14], v[49:50], s[52:53], v[142:143]
	v_mul_f64_e32 v[10:11], s[44:45], v[134:135]
	v_add_f64_e32 v[13:14], v[13:14], v[144:145]
	v_mul_f64_e32 v[144:145], s[40:41], v[176:177]
	s_delay_alu instid0(VALU_DEP_1) | instskip(NEXT) | instid1(VALU_DEP_1)
	v_fma_f64 v[15:16], v[47:48], s[26:27], v[144:145]
	v_add_f64_e32 v[15:16], v[15:16], v[148:149]
	v_mul_f64_e32 v[148:149], s[14:15], v[172:173]
	s_delay_alu instid0(VALU_DEP_1) | instskip(NEXT) | instid1(VALU_DEP_1)
	v_fma_f64 v[17:18], v[45:46], s[36:37], v[148:149]
	v_add_f64_e32 v[13:14], v[17:18], v[13:14]
	v_fma_f64 v[17:18], v[43:44], s[14:15], v[67:68]
	s_delay_alu instid0(VALU_DEP_1) | instskip(SKIP_1) | instid1(VALU_DEP_1)
	v_add_f64_e32 v[15:16], v[17:18], v[15:16]
	v_fma_f64 v[17:18], v[41:42], s[42:43], v[71:72]
	v_add_f64_e32 v[13:14], v[17:18], v[13:14]
	v_fma_f64 v[17:18], v[39:40], s[30:31], v[156:157]
	s_delay_alu instid0(VALU_DEP_1) | instskip(SKIP_1) | instid1(VALU_DEP_1)
	v_add_f64_e32 v[15:16], v[17:18], v[15:16]
	;; [unrolled: 5-line block ×5, first 2 shown]
	v_fma_f64 v[17:18], v[37:38], s[62:63], v[174:175]
	v_add_f64_e32 v[59:60], v[17:18], v[13:14]
	v_fma_f64 v[17:18], v[69:70], s[22:23], v[180:181]
	v_mul_f64_e32 v[12:13], s[10:11], v[132:133]
	s_delay_alu instid0(VALU_DEP_2) | instskip(SKIP_1) | instid1(VALU_DEP_1)
	v_add_f64_e32 v[61:62], v[17:18], v[15:16]
	v_fma_f64 v[17:18], v[49:50], s[64:65], v[215:216]
	v_add_f64_e32 v[17:18], v[17:18], v[21:22]
	v_fma_f64 v[21:22], v[45:46], s[42:43], v[219:220]
	s_delay_alu instid0(VALU_DEP_1) | instskip(SKIP_1) | instid1(VALU_DEP_1)
	v_add_f64_e32 v[17:18], v[21:22], v[17:18]
	v_fma_f64 v[21:22], v[43:44], s[30:31], v[221:222]
	v_add_f64_e32 v[19:20], v[21:22], v[19:20]
	v_fma_f64 v[21:22], v[41:42], s[54:55], v[223:224]
	s_delay_alu instid0(VALU_DEP_1) | instskip(SKIP_1) | instid1(VALU_DEP_1)
	;; [unrolled: 5-line block ×5, first 2 shown]
	v_add_f64_e32 v[17:18], v[21:22], v[17:18]
	v_fma_f64 v[21:22], v[33:34], s[26:27], v[237:238]
	v_add_f64_e32 v[19:20], v[21:22], v[19:20]
	v_fma_f64 v[21:22], v[37:38], s[58:59], v[241:242]
	s_delay_alu instid0(VALU_DEP_1) | instskip(SKIP_2) | instid1(VALU_DEP_2)
	v_add_f64_e32 v[55:56], v[21:22], v[17:18]
	v_fma_f64 v[21:22], v[69:70], s[16:17], v[243:244]
	v_mul_f64_e32 v[16:17], s[26:27], v[128:129]
	v_add_f64_e32 v[57:58], v[21:22], v[19:20]
	v_fma_f64 v[21:22], v[49:50], s[38:39], v[245:246]
	s_delay_alu instid0(VALU_DEP_3) | instskip(NEXT) | instid1(VALU_DEP_2)
	v_fma_f64 v[18:19], v[37:38], s[52:53], v[16:17]
	v_add_f64_e32 v[21:22], v[21:22], v[23:24]
	v_fma_f64 v[23:24], v[47:48], s[22:23], v[247:248]
	s_delay_alu instid0(VALU_DEP_2) | instskip(NEXT) | instid1(VALU_DEP_2)
	v_add_f64_e32 v[21:22], v[187:188], v[21:22]
	v_add_f64_e32 v[23:24], v[23:24], v[189:190]
	v_fma_f64 v[187:188], v[43:44], s[16:17], v[251:252]
	s_delay_alu instid0(VALU_DEP_1) | instskip(SKIP_1) | instid1(VALU_DEP_1)
	v_add_f64_e32 v[23:24], v[187:188], v[23:24]
	v_fma_f64 v[187:188], v[41:42], s[28:29], v[253:254]
	v_add_f64_e32 v[21:22], v[187:188], v[21:22]
	v_fma_f64 v[187:188], v[39:40], s[24:25], v[239:240]
	s_delay_alu instid0(VALU_DEP_2) | instskip(NEXT) | instid1(VALU_DEP_2)
	v_add_f64_e32 v[2:3], v[2:3], v[21:22]
	v_add_f64_e32 v[23:24], v[187:188], v[23:24]
	v_fma_f64 v[21:22], v[27:28], s[14:15], v[6:7]
	s_delay_alu instid0(VALU_DEP_1) | instskip(SKIP_1) | instid1(VALU_DEP_1)
	v_add_f64_e32 v[21:22], v[21:22], v[23:24]
	v_fma_f64 v[23:24], v[25:26], s[50:51], v[8:9]
	v_add_f64_e32 v[2:3], v[23:24], v[2:3]
	v_fma_f64 v[23:24], v[31:32], s[34:35], v[10:11]
	s_delay_alu instid0(VALU_DEP_1) | instskip(SKIP_1) | instid1(VALU_DEP_1)
	v_add_f64_e32 v[21:22], v[23:24], v[21:22]
	v_fma_f64 v[23:24], v[29:30], s[12:13], v[12:13]
	v_add_f64_e32 v[2:3], v[23:24], v[2:3]
	v_mul_f64_e32 v[23:24], s[54:55], v[130:131]
	s_delay_alu instid0(VALU_DEP_2) | instskip(NEXT) | instid1(VALU_DEP_2)
	v_add_f64_e32 v[51:52], v[18:19], v[2:3]
	v_fma_f64 v[14:15], v[33:34], s[10:11], v[23:24]
	v_mul_f64_e32 v[2:3], s[40:41], v[126:127]
	s_delay_alu instid0(VALU_DEP_2) | instskip(NEXT) | instid1(VALU_DEP_2)
	v_add_f64_e32 v[14:15], v[14:15], v[21:22]
	v_fma_f64 v[18:19], v[69:70], s[26:27], v[2:3]
	v_fma_f64 v[20:21], v[43:44], s[10:11], v[0:1]
	v_fma_f64 v[0:1], v[43:44], s[10:11], -v[0:1]
	v_fma_f64 v[2:3], v[69:70], s[26:27], -v[2:3]
	s_delay_alu instid0(VALU_DEP_4) | instskip(SKIP_1) | instid1(VALU_DEP_1)
	v_add_f64_e32 v[53:54], v[18:19], v[14:15]
	v_mul_f64_e32 v[14:15], s[30:31], v[178:179]
	v_fma_f64 v[18:19], v[49:50], s[42:43], v[14:15]
	v_fma_f64 v[14:15], v[49:50], s[56:57], v[14:15]
	s_delay_alu instid0(VALU_DEP_2) | instskip(SKIP_1) | instid1(VALU_DEP_3)
	v_add_f64_e32 v[18:19], v[18:19], v[191:192]
	v_mul_f64_e32 v[191:192], s[56:57], v[176:177]
	v_add_f64_e32 v[14:15], v[14:15], v[195:196]
	s_delay_alu instid0(VALU_DEP_2) | instskip(NEXT) | instid1(VALU_DEP_1)
	v_fma_f64 v[187:188], v[47:48], s[30:31], v[191:192]
	v_add_f64_e32 v[187:188], v[187:188], v[193:194]
	v_mul_f64_e32 v[193:194], s[10:11], v[172:173]
	s_delay_alu instid0(VALU_DEP_2) | instskip(NEXT) | instid1(VALU_DEP_2)
	v_add_f64_e32 v[20:21], v[20:21], v[187:188]
	v_fma_f64 v[189:190], v[45:46], s[12:13], v[193:194]
	v_mul_f64_e32 v[186:187], s[22:23], v[150:151]
	s_delay_alu instid0(VALU_DEP_2) | instskip(NEXT) | instid1(VALU_DEP_2)
	v_add_f64_e32 v[18:19], v[189:190], v[18:19]
	v_fma_f64 v[188:189], v[41:42], s[62:63], v[186:187]
	s_delay_alu instid0(VALU_DEP_1) | instskip(SKIP_1) | instid1(VALU_DEP_1)
	v_add_f64_e32 v[18:19], v[188:189], v[18:19]
	v_mul_f64_e32 v[188:189], s[38:39], v[146:147]
	v_fma_f64 v[95:96], v[39:40], s[22:23], v[188:189]
	s_delay_alu instid0(VALU_DEP_1) | instskip(SKIP_1) | instid1(VALU_DEP_1)
	v_add_f64_e32 v[20:21], v[95:96], v[20:21]
	v_mul_f64_e32 v[95:96], s[34:35], v[140:141]
	;; [unrolled: 4-line block ×7, first 2 shown]
	v_fma_f64 v[211:212], v[33:34], s[14:15], v[73:74]
	v_fma_f64 v[73:74], v[33:34], s[14:15], -v[73:74]
	s_delay_alu instid0(VALU_DEP_2) | instskip(SKIP_1) | instid1(VALU_DEP_1)
	v_add_f64_e32 v[20:21], v[211:212], v[20:21]
	v_mul_f64_e32 v[211:212], s[24:25], v[128:129]
	v_fma_f64 v[75:76], v[37:38], s[60:61], v[211:212]
	s_delay_alu instid0(VALU_DEP_1) | instskip(SKIP_1) | instid1(VALU_DEP_1)
	v_add_f64_e32 v[18:19], v[75:76], v[18:19]
	v_mul_f64_e32 v[75:76], s[28:29], v[126:127]
	v_fma_f64 v[77:78], v[69:70], s[24:25], v[75:76]
	v_fma_f64 v[75:76], v[69:70], s[24:25], -v[75:76]
	s_delay_alu instid0(VALU_DEP_2) | instskip(SKIP_2) | instid1(VALU_DEP_2)
	v_add_f64_e32 v[20:21], v[77:78], v[20:21]
	v_fma_f64 v[77:78], v[47:48], s[30:31], -v[191:192]
	v_fma_f64 v[190:191], v[45:46], s[54:55], v[193:194]
	v_add_f64_e32 v[77:78], v[77:78], v[197:198]
	s_delay_alu instid0(VALU_DEP_2) | instskip(NEXT) | instid1(VALU_DEP_2)
	v_add_f64_e32 v[14:15], v[190:191], v[14:15]
	v_add_f64_e32 v[0:1], v[0:1], v[77:78]
	v_fma_f64 v[77:78], v[41:42], s[38:39], v[186:187]
	s_delay_alu instid0(VALU_DEP_1) | instskip(SKIP_1) | instid1(VALU_DEP_1)
	v_add_f64_e32 v[14:15], v[77:78], v[14:15]
	v_fma_f64 v[77:78], v[39:40], s[22:23], -v[188:189]
	v_add_f64_e32 v[0:1], v[77:78], v[0:1]
	v_fma_f64 v[77:78], v[35:36], s[44:45], v[95:96]
	s_delay_alu instid0(VALU_DEP_1) | instskip(SKIP_1) | instid1(VALU_DEP_1)
	v_add_f64_e32 v[14:15], v[77:78], v[14:15]
	v_fma_f64 v[77:78], v[27:28], s[34:35], -v[93:94]
	v_add_f64_e32 v[0:1], v[77:78], v[0:1]
	v_fma_f64 v[77:78], v[25:26], s[58:59], v[91:92]
	s_delay_alu instid0(VALU_DEP_1) | instskip(SKIP_2) | instid1(VALU_DEP_2)
	v_add_f64_e32 v[14:15], v[77:78], v[14:15]
	v_fma_f64 v[77:78], v[31:32], s[16:17], -v[213:214]
	v_mul_f64_e32 v[213:214], s[30:31], v[128:129]
	v_add_f64_e32 v[0:1], v[77:78], v[0:1]
	v_fma_f64 v[77:78], v[29:30], s[36:37], v[89:90]
	s_delay_alu instid0(VALU_DEP_2) | instskip(NEXT) | instid1(VALU_DEP_2)
	v_add_f64_e32 v[0:1], v[73:74], v[0:1]
	v_add_f64_e32 v[14:15], v[77:78], v[14:15]
	v_fma_f64 v[73:74], v[37:38], s[28:29], v[211:212]
	v_mul_f64_e32 v[77:78], s[34:35], v[172:173]
	v_mul_f64_e32 v[211:212], s[18:19], v[130:131]
	;; [unrolled: 1-line block ×3, first 2 shown]
	v_add_f64_e32 v[193:194], v[75:76], v[0:1]
	v_mul_f64_e32 v[0:1], s[24:25], v[178:179]
	v_add_f64_e32 v[191:192], v[73:74], v[14:15]
	v_mul_f64_e32 v[73:74], s[28:29], v[176:177]
	v_fma_f64 v[89:90], v[45:46], s[44:45], v[77:78]
	s_delay_alu instid0(VALU_DEP_4) | instskip(SKIP_1) | instid1(VALU_DEP_4)
	v_fma_f64 v[14:15], v[49:50], s[60:61], v[0:1]
	v_fma_f64 v[0:1], v[49:50], s[28:29], v[0:1]
	;; [unrolled: 1-line block ×3, first 2 shown]
	v_fma_f64 v[73:74], v[47:48], s[24:25], -v[73:74]
	s_delay_alu instid0(VALU_DEP_4) | instskip(SKIP_1) | instid1(VALU_DEP_4)
	v_add_f64_e32 v[14:15], v[14:15], v[199:200]
	v_mul_f64_e32 v[199:200], s[36:37], v[134:135]
	v_add_f64_e32 v[75:76], v[75:76], v[201:202]
	v_mul_f64_e32 v[201:202], s[16:17], v[132:133]
	v_add_f64_e32 v[0:1], v[0:1], v[203:204]
	v_add_f64_e32 v[73:74], v[73:74], v[205:206]
	v_mul_f64_e32 v[134:135], s[28:29], v[134:135]
	v_mul_f64_e32 v[132:133], s[30:31], v[132:133]
	v_add_f64_e32 v[14:15], v[89:90], v[14:15]
	v_mul_f64_e32 v[89:90], s[50:51], v[170:171]
	s_delay_alu instid0(VALU_DEP_1) | instskip(NEXT) | instid1(VALU_DEP_1)
	v_fma_f64 v[91:92], v[43:44], s[34:35], v[89:90]
	v_add_f64_e32 v[75:76], v[91:92], v[75:76]
	v_mul_f64_e32 v[91:92], s[26:27], v[150:151]
	s_delay_alu instid0(VALU_DEP_1) | instskip(NEXT) | instid1(VALU_DEP_1)
	v_fma_f64 v[93:94], v[41:42], s[40:41], v[91:92]
	;; [unrolled: 4-line block ×4, first 2 shown]
	v_add_f64_e32 v[14:15], v[186:187], v[14:15]
	v_mul_f64_e32 v[186:187], s[54:55], v[138:139]
	v_mul_f64_e32 v[138:139], s[40:41], v[138:139]
	s_delay_alu instid0(VALU_DEP_2) | instskip(NEXT) | instid1(VALU_DEP_1)
	v_fma_f64 v[188:189], v[27:28], s[10:11], v[186:187]
	v_add_f64_e32 v[75:76], v[188:189], v[75:76]
	v_mul_f64_e32 v[188:189], s[14:15], v[136:137]
	v_mul_f64_e32 v[136:137], s[24:25], v[136:137]
	s_delay_alu instid0(VALU_DEP_2) | instskip(NEXT) | instid1(VALU_DEP_1)
	v_fma_f64 v[195:196], v[25:26], s[64:65], v[188:189]
	v_add_f64_e32 v[14:15], v[195:196], v[14:15]
	v_fma_f64 v[195:196], v[31:32], s[14:15], v[199:200]
	s_delay_alu instid0(VALU_DEP_1) | instskip(SKIP_1) | instid1(VALU_DEP_1)
	v_add_f64_e32 v[75:76], v[195:196], v[75:76]
	v_fma_f64 v[195:196], v[29:30], s[58:59], v[201:202]
	v_add_f64_e32 v[14:15], v[195:196], v[14:15]
	v_fma_f64 v[195:196], v[33:34], s[16:17], v[211:212]
	s_delay_alu instid0(VALU_DEP_1) | instskip(SKIP_1) | instid1(VALU_DEP_1)
	v_add_f64_e32 v[75:76], v[195:196], v[75:76]
	v_fma_f64 v[195:196], v[37:38], s[56:57], v[213:214]
	v_add_f64_e32 v[195:196], v[195:196], v[14:15]
	v_mul_f64_e32 v[14:15], s[42:43], v[126:127]
	s_delay_alu instid0(VALU_DEP_1) | instskip(SKIP_1) | instid1(VALU_DEP_2)
	v_fma_f64 v[197:198], v[69:70], s[30:31], v[14:15]
	v_fma_f64 v[14:15], v[69:70], s[30:31], -v[14:15]
	v_add_f64_e32 v[197:198], v[197:198], v[75:76]
	v_fma_f64 v[75:76], v[45:46], s[50:51], v[77:78]
	v_mul_f64_e32 v[77:78], s[22:23], v[172:173]
	s_delay_alu instid0(VALU_DEP_2) | instskip(SKIP_1) | instid1(VALU_DEP_3)
	v_add_f64_e32 v[0:1], v[75:76], v[0:1]
	v_fma_f64 v[75:76], v[43:44], s[34:35], -v[89:90]
	v_fma_f64 v[89:90], v[45:46], s[62:63], v[77:78]
	s_delay_alu instid0(VALU_DEP_2) | instskip(SKIP_1) | instid1(VALU_DEP_1)
	v_add_f64_e32 v[73:74], v[75:76], v[73:74]
	v_fma_f64 v[75:76], v[41:42], s[52:53], v[91:92]
	v_add_f64_e32 v[0:1], v[75:76], v[0:1]
	v_fma_f64 v[75:76], v[39:40], s[26:27], -v[93:94]
	s_delay_alu instid0(VALU_DEP_1) | instskip(SKIP_1) | instid1(VALU_DEP_1)
	v_add_f64_e32 v[73:74], v[75:76], v[73:74]
	v_fma_f64 v[75:76], v[35:36], s[54:55], v[95:96]
	v_add_f64_e32 v[0:1], v[75:76], v[0:1]
	v_fma_f64 v[75:76], v[27:28], s[10:11], -v[186:187]
	s_delay_alu instid0(VALU_DEP_1) | instskip(SKIP_1) | instid1(VALU_DEP_1)
	;; [unrolled: 5-line block ×3, first 2 shown]
	v_add_f64_e32 v[73:74], v[75:76], v[73:74]
	v_fma_f64 v[75:76], v[29:30], s[18:19], v[201:202]
	v_add_f64_e32 v[0:1], v[75:76], v[0:1]
	v_fma_f64 v[75:76], v[33:34], s[16:17], -v[211:212]
	s_delay_alu instid0(VALU_DEP_1) | instskip(SKIP_1) | instid1(VALU_DEP_2)
	v_add_f64_e32 v[73:74], v[75:76], v[73:74]
	v_fma_f64 v[75:76], v[37:38], s[42:43], v[213:214]
	v_add_f64_e32 v[201:202], v[14:15], v[73:74]
	s_delay_alu instid0(VALU_DEP_2) | instskip(SKIP_2) | instid1(VALU_DEP_2)
	v_add_f64_e32 v[199:200], v[75:76], v[0:1]
	v_mul_f64_e32 v[0:1], s[10:11], v[178:179]
	v_mul_f64_e32 v[73:74], s[12:13], v[176:177]
	v_fma_f64 v[14:15], v[49:50], s[54:55], v[0:1]
	s_delay_alu instid0(VALU_DEP_2) | instskip(SKIP_1) | instid1(VALU_DEP_3)
	v_fma_f64 v[75:76], v[47:48], s[10:11], v[73:74]
	v_fma_f64 v[0:1], v[49:50], s[12:13], v[0:1]
	v_add_f64_e32 v[14:15], v[14:15], v[207:208]
	s_delay_alu instid0(VALU_DEP_3) | instskip(NEXT) | instid1(VALU_DEP_2)
	v_add_f64_e32 v[75:76], v[75:76], v[209:210]
	v_add_f64_e32 v[14:15], v[89:90], v[14:15]
	v_mul_f64_e32 v[89:90], s[38:39], v[170:171]
	s_delay_alu instid0(VALU_DEP_1) | instskip(NEXT) | instid1(VALU_DEP_1)
	v_fma_f64 v[91:92], v[43:44], s[22:23], v[89:90]
	v_add_f64_e32 v[75:76], v[91:92], v[75:76]
	v_mul_f64_e32 v[91:92], s[16:17], v[150:151]
	s_delay_alu instid0(VALU_DEP_1) | instskip(NEXT) | instid1(VALU_DEP_1)
	v_fma_f64 v[93:94], v[41:42], s[58:59], v[91:92]
	v_add_f64_e32 v[14:15], v[93:94], v[14:15]
	v_mul_f64_e32 v[93:94], s[18:19], v[146:147]
	v_mul_f64_e32 v[146:147], s[44:45], v[126:127]
	s_delay_alu instid0(VALU_DEP_2) | instskip(NEXT) | instid1(VALU_DEP_1)
	v_fma_f64 v[95:96], v[39:40], s[16:17], v[93:94]
	v_add_f64_e32 v[75:76], v[95:96], v[75:76]
	v_mul_f64_e32 v[95:96], s[26:27], v[140:141]
	s_delay_alu instid0(VALU_DEP_1) | instskip(NEXT) | instid1(VALU_DEP_1)
	v_fma_f64 v[140:141], v[35:36], s[52:53], v[95:96]
	v_add_f64_e32 v[14:15], v[140:141], v[14:15]
	v_fma_f64 v[140:141], v[27:28], s[26:27], v[138:139]
	s_delay_alu instid0(VALU_DEP_1) | instskip(SKIP_1) | instid1(VALU_DEP_1)
	v_add_f64_e32 v[75:76], v[140:141], v[75:76]
	v_fma_f64 v[140:141], v[25:26], s[60:61], v[136:137]
	v_add_f64_e32 v[14:15], v[140:141], v[14:15]
	v_fma_f64 v[140:141], v[31:32], s[24:25], v[134:135]
	s_delay_alu instid0(VALU_DEP_1) | instskip(SKIP_1) | instid1(VALU_DEP_1)
	v_add_f64_e32 v[75:76], v[140:141], v[75:76]
	;; [unrolled: 5-line block ×3, first 2 shown]
	v_mul_f64_e32 v[140:141], s[34:35], v[128:129]
	v_fma_f64 v[126:127], v[37:38], s[50:51], v[140:141]
	s_delay_alu instid0(VALU_DEP_1) | instskip(SKIP_1) | instid1(VALU_DEP_1)
	v_add_f64_e32 v[126:127], v[126:127], v[14:15]
	v_fma_f64 v[14:15], v[69:70], s[34:35], v[146:147]
	v_add_f64_e32 v[128:129], v[14:15], v[75:76]
	scratch_load_b64 v[14:15], off, off offset:180 th:TH_LOAD_LU ; 8-byte Folded Reload
	v_fma_f64 v[75:76], v[69:70], s[34:35], -v[146:147]
	s_wait_loadcnt 0x0
	v_add_f64_e32 v[0:1], v[0:1], v[14:15]
	v_fma_f64 v[14:15], v[47:48], s[10:11], -v[73:74]
	scratch_load_b64 v[73:74], off, off offset:172 th:TH_LOAD_LU ; 8-byte Folded Reload
	s_wait_loadcnt 0x0
	v_add_f64_e32 v[14:15], v[14:15], v[73:74]
	v_fma_f64 v[73:74], v[45:46], s[38:39], v[77:78]
	s_delay_alu instid0(VALU_DEP_1) | instskip(SKIP_1) | instid1(VALU_DEP_1)
	v_add_f64_e32 v[0:1], v[73:74], v[0:1]
	v_fma_f64 v[73:74], v[43:44], s[22:23], -v[89:90]
	v_add_f64_e32 v[14:15], v[73:74], v[14:15]
	v_fma_f64 v[73:74], v[41:42], s[18:19], v[91:92]
	s_delay_alu instid0(VALU_DEP_1) | instskip(SKIP_1) | instid1(VALU_DEP_1)
	v_add_f64_e32 v[0:1], v[73:74], v[0:1]
	v_fma_f64 v[73:74], v[39:40], s[16:17], -v[93:94]
	;; [unrolled: 5-line block ×5, first 2 shown]
	v_add_f64_e32 v[14:15], v[73:74], v[14:15]
	v_fma_f64 v[73:74], v[37:38], s[44:45], v[140:141]
	s_delay_alu instid0(VALU_DEP_2)
	v_add_f64_e32 v[132:133], v[75:76], v[14:15]
	scratch_load_b64 v[14:15], off, off offset:164 th:TH_LOAD_LU ; 8-byte Folded Reload
	v_add_f64_e32 v[130:131], v[73:74], v[0:1]
	scratch_load_b64 v[73:74], off, off offset:156 th:TH_LOAD_LU ; 8-byte Folded Reload
	v_fma_f64 v[0:1], v[49:50], s[62:63], v[245:246]
	s_wait_loadcnt 0x1
	s_delay_alu instid0(VALU_DEP_1) | instskip(SKIP_2) | instid1(VALU_DEP_1)
	v_add_f64_e32 v[0:1], v[0:1], v[14:15]
	v_fma_f64 v[14:15], v[47:48], s[22:23], -v[247:248]
	s_wait_loadcnt 0x0
	v_add_f64_e32 v[14:15], v[14:15], v[73:74]
	v_fma_f64 v[73:74], v[45:46], s[18:19], v[249:250]
	s_delay_alu instid0(VALU_DEP_1) | instskip(SKIP_1) | instid1(VALU_DEP_1)
	v_add_f64_e32 v[0:1], v[73:74], v[0:1]
	v_fma_f64 v[73:74], v[43:44], s[16:17], -v[251:252]
	v_add_f64_e32 v[14:15], v[73:74], v[14:15]
	v_fma_f64 v[73:74], v[41:42], s[60:61], v[253:254]
	s_delay_alu instid0(VALU_DEP_1) | instskip(SKIP_1) | instid1(VALU_DEP_2)
	v_add_f64_e32 v[0:1], v[73:74], v[0:1]
	v_fma_f64 v[73:74], v[39:40], s[24:25], -v[239:240]
	v_add_f64_e32 v[0:1], v[4:5], v[0:1]
	s_delay_alu instid0(VALU_DEP_2) | instskip(SKIP_2) | instid1(VALU_DEP_2)
	v_add_f64_e32 v[14:15], v[73:74], v[14:15]
	v_fma_f64 v[4:5], v[27:28], s[14:15], -v[6:7]
	v_fma_f64 v[6:7], v[25:26], s[44:45], v[8:9]
	v_add_f64_e32 v[4:5], v[4:5], v[14:15]
	s_delay_alu instid0(VALU_DEP_2) | instskip(SKIP_1) | instid1(VALU_DEP_1)
	v_add_f64_e32 v[0:1], v[6:7], v[0:1]
	v_fma_f64 v[6:7], v[31:32], s[34:35], -v[10:11]
	v_add_f64_e32 v[4:5], v[6:7], v[4:5]
	v_fma_f64 v[6:7], v[29:30], s[54:55], v[12:13]
	s_delay_alu instid0(VALU_DEP_1) | instskip(SKIP_1) | instid1(VALU_DEP_1)
	v_add_f64_e32 v[0:1], v[6:7], v[0:1]
	v_fma_f64 v[6:7], v[33:34], s[10:11], -v[23:24]
	v_add_f64_e32 v[4:5], v[6:7], v[4:5]
	v_fma_f64 v[6:7], v[37:38], s[40:41], v[16:17]
	s_delay_alu instid0(VALU_DEP_2)
	v_add_f64_e32 v[136:137], v[2:3], v[4:5]
	s_clause 0x1
	scratch_load_b64 v[2:3], off, off offset:148 th:TH_LOAD_LU
	scratch_load_b64 v[4:5], off, off offset:140 th:TH_LOAD_LU
	v_add_f64_e32 v[134:135], v[6:7], v[0:1]
	v_fma_f64 v[0:1], v[49:50], s[36:37], v[215:216]
	v_fma_f64 v[6:7], v[69:70], s[16:17], -v[243:244]
	s_wait_loadcnt 0x1
	s_delay_alu instid0(VALU_DEP_2) | instskip(SKIP_2) | instid1(VALU_DEP_1)
	v_add_f64_e32 v[0:1], v[0:1], v[2:3]
	v_fma_f64 v[2:3], v[47:48], s[14:15], -v[217:218]
	s_wait_loadcnt 0x0
	v_add_f64_e32 v[2:3], v[2:3], v[4:5]
	v_fma_f64 v[4:5], v[45:46], s[56:57], v[219:220]
	s_delay_alu instid0(VALU_DEP_1) | instskip(SKIP_1) | instid1(VALU_DEP_1)
	v_add_f64_e32 v[0:1], v[4:5], v[0:1]
	v_fma_f64 v[4:5], v[43:44], s[30:31], -v[221:222]
	v_add_f64_e32 v[2:3], v[4:5], v[2:3]
	v_fma_f64 v[4:5], v[41:42], s[12:13], v[223:224]
	s_delay_alu instid0(VALU_DEP_1) | instskip(SKIP_1) | instid1(VALU_DEP_1)
	v_add_f64_e32 v[0:1], v[4:5], v[0:1]
	v_fma_f64 v[4:5], v[39:40], s[10:11], -v[225:226]
	;; [unrolled: 5-line block ×5, first 2 shown]
	v_add_f64_e32 v[2:3], v[4:5], v[2:3]
	v_fma_f64 v[4:5], v[37:38], s[18:19], v[241:242]
	s_delay_alu instid0(VALU_DEP_2)
	v_add_f64_e32 v[95:96], v[6:7], v[2:3]
	scratch_load_b64 v[2:3], off, off offset:132 th:TH_LOAD_LU ; 8-byte Folded Reload
	v_add_f64_e32 v[93:94], v[4:5], v[0:1]
	scratch_load_b64 v[4:5], off, off offset:124 th:TH_LOAD_LU ; 8-byte Folded Reload
	v_fma_f64 v[0:1], v[49:50], s[40:41], v[142:143]
	v_fma_f64 v[6:7], v[69:70], s[22:23], -v[180:181]
	s_wait_loadcnt 0x1
	s_delay_alu instid0(VALU_DEP_2) | instskip(SKIP_2) | instid1(VALU_DEP_1)
	v_add_f64_e32 v[0:1], v[0:1], v[2:3]
	v_fma_f64 v[2:3], v[47:48], s[26:27], -v[144:145]
	s_wait_loadcnt 0x0
	v_add_f64_e32 v[2:3], v[2:3], v[4:5]
	v_fma_f64 v[4:5], v[45:46], s[64:65], v[148:149]
	s_delay_alu instid0(VALU_DEP_1) | instskip(SKIP_1) | instid1(VALU_DEP_1)
	v_add_f64_e32 v[0:1], v[4:5], v[0:1]
	v_fma_f64 v[4:5], v[43:44], s[14:15], -v[67:68]
	v_add_f64_e32 v[2:3], v[4:5], v[2:3]
	v_fma_f64 v[4:5], v[41:42], s[56:57], v[71:72]
	s_delay_alu instid0(VALU_DEP_1) | instskip(SKIP_1) | instid1(VALU_DEP_1)
	v_add_f64_e32 v[0:1], v[4:5], v[0:1]
	v_fma_f64 v[4:5], v[39:40], s[30:31], -v[156:157]
	;; [unrolled: 5-line block ×5, first 2 shown]
	v_add_f64_e32 v[2:3], v[4:5], v[2:3]
	v_fma_f64 v[4:5], v[37:38], s[38:39], v[174:175]
	s_delay_alu instid0(VALU_DEP_2)
	v_add_f64_e32 v[91:92], v[6:7], v[2:3]
	scratch_load_b64 v[2:3], off, off offset:36 th:TH_LOAD_LU ; 8-byte Folded Reload
	v_add_f64_e32 v[89:90], v[4:5], v[0:1]
	scratch_load_b64 v[4:5], off, off offset:28 th:TH_LOAD_LU ; 8-byte Folded Reload
	v_fma_f64 v[0:1], v[49:50], s[50:51], v[97:98]
	v_fma_f64 v[6:7], v[69:70], s[10:11], -v[124:125]
	s_wait_loadcnt 0x1
	s_delay_alu instid0(VALU_DEP_2) | instskip(SKIP_2) | instid1(VALU_DEP_1)
	v_add_f64_e32 v[0:1], v[0:1], v[2:3]
	v_fma_f64 v[2:3], v[47:48], s[34:35], -v[99:100]
	s_wait_loadcnt 0x0
	v_add_f64_e32 v[2:3], v[2:3], v[4:5]
	v_fma_f64 v[4:5], v[45:46], s[40:41], v[101:102]
	s_delay_alu instid0(VALU_DEP_1) | instskip(SKIP_1) | instid1(VALU_DEP_1)
	v_add_f64_e32 v[0:1], v[4:5], v[0:1]
	v_fma_f64 v[4:5], v[43:44], s[26:27], -v[103:104]
	v_add_f64_e32 v[2:3], v[4:5], v[2:3]
	v_fma_f64 v[4:5], v[41:42], s[36:37], v[106:107]
	s_delay_alu instid0(VALU_DEP_1) | instskip(SKIP_1) | instid1(VALU_DEP_1)
	v_add_f64_e32 v[0:1], v[4:5], v[0:1]
	v_fma_f64 v[4:5], v[39:40], s[14:15], -v[108:109]
	;; [unrolled: 5-line block ×5, first 2 shown]
	v_add_f64_e32 v[2:3], v[4:5], v[2:3]
	v_fma_f64 v[4:5], v[37:38], s[12:13], v[122:123]
	s_delay_alu instid0(VALU_DEP_2) | instskip(NEXT) | instid1(VALU_DEP_2)
	v_add_f64_e32 v[99:100], v[6:7], v[2:3]
	v_add_f64_e32 v[97:98], v[4:5], v[0:1]
	s_clause 0x3
	scratch_load_b64 v[0:1], off, off offset:44 th:TH_LOAD_LU
	scratch_load_b64 v[4:5], off, off offset:4 th:TH_LOAD_LU
	;; [unrolled: 1-line block ×4, first 2 shown]
	s_wait_loadcnt 0x3
	v_fma_f64 v[0:1], v[49:50], s[58:59], v[0:1]
	s_wait_loadcnt 0x2
	s_delay_alu instid0(VALU_DEP_1) | instskip(SKIP_4) | instid1(VALU_DEP_1)
	v_add_f64_e32 v[0:1], v[0:1], v[4:5]
	scratch_load_b64 v[4:5], off, off offset:20 th:TH_LOAD_LU ; 8-byte Folded Reload
	s_wait_loadcnt 0x2
	v_fma_f64 v[2:3], v[47:48], s[16:17], -v[2:3]
	s_wait_loadcnt 0x0
	v_add_f64_e32 v[2:3], v[2:3], v[4:5]
	scratch_load_b64 v[4:5], off, off offset:68 th:TH_LOAD_LU ; 8-byte Folded Reload
	s_wait_loadcnt 0x0
	v_fma_f64 v[4:5], v[45:46], s[60:61], v[4:5]
	s_delay_alu instid0(VALU_DEP_1) | instskip(SKIP_3) | instid1(VALU_DEP_1)
	v_add_f64_e32 v[0:1], v[4:5], v[0:1]
	scratch_load_b64 v[4:5], off, off offset:84 th:TH_LOAD_LU ; 8-byte Folded Reload
	s_wait_loadcnt 0x0
	v_fma_f64 v[4:5], v[41:42], s[50:51], v[4:5]
	v_add_f64_e32 v[0:1], v[4:5], v[0:1]
	scratch_load_b64 v[4:5], off, off offset:100 th:TH_LOAD_LU ; 8-byte Folded Reload
	s_wait_loadcnt 0x0
	v_fma_f64 v[4:5], v[35:36], s[42:43], v[4:5]
	s_delay_alu instid0(VALU_DEP_1) | instskip(SKIP_3) | instid1(VALU_DEP_1)
	v_add_f64_e32 v[0:1], v[4:5], v[0:1]
	scratch_load_b64 v[4:5], off, off offset:116 th:TH_LOAD_LU ; 8-byte Folded Reload
	s_wait_loadcnt 0x0
	v_fma_f64 v[4:5], v[25:26], s[40:41], v[4:5]
	v_add_f64_e32 v[0:1], v[4:5], v[0:1]
	v_fma_f64 v[4:5], v[29:30], s[38:39], v[81:82]
	s_delay_alu instid0(VALU_DEP_1) | instskip(SKIP_1) | instid1(VALU_DEP_1)
	v_add_f64_e32 v[0:1], v[4:5], v[0:1]
	v_fma_f64 v[4:5], v[37:38], s[36:37], v[85:86]
	v_add_f64_e32 v[25:26], v[4:5], v[0:1]
	scratch_load_b32 v1, off, off           ; 4-byte Folded Reload
	v_fma_f64 v[6:7], v[43:44], s[24:25], -v[6:7]
	v_mul_u32_u24_e32 v0, 0x770, v255
	s_delay_alu instid0(VALU_DEP_2) | instskip(SKIP_3) | instid1(VALU_DEP_1)
	v_add_f64_e32 v[2:3], v[6:7], v[2:3]
	scratch_load_b64 v[6:7], off, off offset:92 th:TH_LOAD_LU ; 8-byte Folded Reload
	s_wait_loadcnt 0x1
	v_lshlrev_b32_e32 v106, 4, v1
	v_add3_u32 v0, 0, v0, v106
	s_wait_loadcnt 0x0
	v_fma_f64 v[6:7], v[39:40], s[34:35], -v[6:7]
	s_delay_alu instid0(VALU_DEP_1)
	v_add_f64_e32 v[2:3], v[6:7], v[2:3]
	scratch_load_b64 v[6:7], off, off offset:108 th:TH_LOAD_LU ; 8-byte Folded Reload
	ds_store_b128 v0, v[182:185]
	ds_store_b128 v0, v[63:66] offset:112
	ds_store_b128 v0, v[152:155] offset:224
	;; [unrolled: 1-line block ×6, first 2 shown]
	s_load_b64 s[46:47], s[46:47], 0x0
	s_wait_loadcnt 0x0
	v_fma_f64 v[6:7], v[27:28], s[30:31], -v[6:7]
	s_delay_alu instid0(VALU_DEP_1) | instskip(SKIP_1) | instid1(VALU_DEP_1)
	v_add_f64_e32 v[2:3], v[6:7], v[2:3]
	v_fma_f64 v[6:7], v[31:32], s[26:27], -v[79:80]
	v_add_f64_e32 v[2:3], v[6:7], v[2:3]
	v_fma_f64 v[6:7], v[33:34], s[22:23], -v[83:84]
	s_delay_alu instid0(VALU_DEP_1) | instskip(SKIP_1) | instid1(VALU_DEP_1)
	v_add_f64_e32 v[2:3], v[6:7], v[2:3]
	v_fma_f64 v[6:7], v[69:70], s[14:15], -v[87:88]
	v_add_f64_e32 v[27:28], v[6:7], v[2:3]
	ds_store_b128 v0, v[195:198] offset:784
	ds_store_b128 v0, v[126:129] offset:896
	ds_store_b128 v0, v[130:133] offset:1008
	ds_store_b128 v0, v[199:202] offset:1120
	ds_store_b128 v0, v[191:194] offset:1232
	ds_store_b128 v0, v[134:137] offset:1344
	ds_store_b128 v0, v[93:96] offset:1456
	ds_store_b128 v0, v[89:92] offset:1568
	ds_store_b128 v0, v[97:100] offset:1680
	ds_store_b128 v0, v[25:28] offset:1792
	global_wb scope:SCOPE_SE
	s_wait_storecnt_dscnt 0x0
	s_wait_kmcnt 0x0
	s_barrier_signal -1
	s_barrier_wait -1
	global_inv scope:SCOPE_SE
	s_and_saveexec_b32 s66, s33
	s_cbranch_execz .LBB0_48
; %bb.47:
	v_mul_lo_u16 v0, v255, 31
	s_lshl_b64 s[2:3], s[2:3], 4
	v_mov_b32_e32 v200, v105
	s_delay_alu instid0(VALU_DEP_2) | instskip(NEXT) | instid1(VALU_DEP_1)
	v_lshrrev_b16 v0, 9, v0
	v_mul_lo_u16 v0, v0, 17
	s_delay_alu instid0(VALU_DEP_1) | instskip(NEXT) | instid1(VALU_DEP_1)
	v_sub_nc_u16 v0, v255, v0
	v_and_b32_e32 v5, 0xff, v0
	s_delay_alu instid0(VALU_DEP_1)
	v_mov_b32_e32 v8, v5
	v_lshlrev_b32_e32 v0, 8, v5
	s_clause 0x9
	global_load_b128 v[61:64], v0, s[48:49] offset:64
	global_load_b128 v[9:12], v0, s[48:49] offset:176
	;; [unrolled: 1-line block ×6, first 2 shown]
	global_load_b128 v[81:84], v0, s[48:49]
	global_load_b128 v[85:88], v0, s[48:49] offset:240
	global_load_b128 v[13:16], v0, s[48:49] offset:80
	global_load_b128 v[1:4], v0, s[48:49] offset:16
	v_add_nc_u32_e32 v7, 0xee, v8
	s_delay_alu instid0(VALU_DEP_1) | instskip(NEXT) | instid1(VALU_DEP_1)
	v_mul_lo_u32 v25, v200, v7
	v_and_b32_e32 v27, 0xff, v25
	scratch_store_b32 off, v8, off offset:180 ; 4-byte Folded Spill
	s_clause 0x2
	global_load_b128 v[77:80], v0, s[48:49] offset:112
	global_load_b128 v[65:68], v0, s[48:49] offset:144
	;; [unrolled: 1-line block ×3, first 2 shown]
	v_add_nc_u32_e32 v5, 0x110, v8
	v_add_nc_u32_e32 v6, 0xff, v8
	;; [unrolled: 1-line block ×4, first 2 shown]
	s_clause 0x1
	global_load_b128 v[69:72], v0, s[48:49] offset:96
	global_load_b128 v[17:20], v0, s[48:49] offset:160
	v_mul_lo_u32 v23, v200, v5
	v_mul_lo_u32 v24, v200, v6
	global_load_b128 v[5:8], v0, s[48:49] offset:224
	v_mul_lo_u32 v0, v200, v21
	v_mul_lo_u32 v21, v200, v22
	v_lshrrev_b32_e32 v25, 4, v25
	v_lshlrev_b32_e32 v30, 4, v27
	v_and_b32_e32 v22, 0xff, v23
	v_lshrrev_b32_e32 v23, 4, v23
	v_and_b32_e32 v26, 0xff, v24
	v_lshrrev_b32_e32 v24, 4, v24
	;; [unrolled: 2-line block ×4, first 2 shown]
	v_lshlrev_b32_e32 v22, 4, v22
	v_and_b32_e32 v23, 0xff0, v23
	v_lshlrev_b32_e32 v26, 4, v26
	v_and_b32_e32 v24, 0xff0, v24
	v_and_b32_e32 v33, 0xff0, v25
	v_lshlrev_b32_e32 v34, 4, v28
	v_and_b32_e32 v0, 0xff0, v0
	v_lshlrev_b32_e32 v35, 4, v29
	v_and_b32_e32 v36, 0xff0, v21
	s_clause 0x9
	global_load_b128 v[216:219], v22, s[8:9]
	global_load_b128 v[41:44], v23, s[8:9] offset:4096
	global_load_b128 v[25:28], v26, s[8:9]
	global_load_b128 v[45:48], v24, s[8:9] offset:4096
	;; [unrolled: 2-line block ×5, first 2 shown]
	v_mul_u32_u24_e32 v0, 0x70, v255
	s_delay_alu instid0(VALU_DEP_1)
	v_add3_u32 v0, 0, v0, v106
	ds_load_b128 v[108:111], v0 offset:9520
	ds_load_b128 v[112:115], v0 offset:22848
	ds_load_b128 v[118:121], v0 offset:7616
	ds_load_b128 v[122:125], v0 offset:24752
	ds_load_b128 v[126:129], v0 offset:5712
	ds_load_b128 v[130:133], v0 offset:26656
	ds_load_b128 v[134:137], v0 offset:1904
	ds_load_b128 v[138:141], v0 offset:30464
	ds_load_b128 v[142:145], v0 offset:3808
	ds_load_b128 v[146:149], v0 offset:28560
	ds_load_b128 v[150:153], v0 offset:15232
	ds_load_b128 v[154:157], v0 offset:17136
	ds_load_b128 v[158:161], v0 offset:13328
	ds_load_b128 v[162:165], v0 offset:11424
	ds_load_b128 v[166:169], v0 offset:19040
	ds_load_b128 v[170:173], v0 offset:20944
	s_wait_loadcnt_dscnt 0x190f
	v_mul_f64_e32 v[106:107], v[108:109], v[63:64]
	s_wait_loadcnt_dscnt 0x180e
	v_mul_f64_e32 v[116:117], v[112:113], v[11:12]
	;; [unrolled: 2-line block ×4, first 2 shown]
	v_mul_f64_e32 v[188:189], v[110:111], v[63:64]
	s_wait_loadcnt_dscnt 0x140a
	v_mul_f64_e32 v[180:181], v[130:131], v[91:92]
	s_wait_loadcnt_dscnt 0x1309
	;; [unrolled: 2-line block ×3, first 2 shown]
	v_mul_f64_e32 v[184:185], v[138:139], v[87:88]
	v_mul_f64_e32 v[178:179], v[126:127], v[95:96]
	;; [unrolled: 1-line block ×9, first 2 shown]
	s_wait_loadcnt_dscnt 0xf05
	v_mul_f64_e32 v[186:187], v[150:151], v[79:80]
	v_mul_f64_e32 v[192:193], v[152:153], v[79:80]
	s_wait_loadcnt_dscnt 0xd04
	v_mul_f64_e32 v[190:191], v[154:155], v[75:76]
	v_mul_f64_e32 v[75:76], v[156:157], v[75:76]
	s_wait_loadcnt 0xa
	v_mul_f64_e32 v[11:12], v[146:147], v[7:8]
	v_fma_f64 v[222:223], v[110:111], v[61:62], v[106:107]
	v_fma_f64 v[79:80], v[114:115], v[9:10], v[116:117]
	;; [unrolled: 1-line block ×4, first 2 shown]
	s_wait_dscnt 0x2
	v_mul_f64_e32 v[174:175], v[164:165], v[15:16]
	v_fma_f64 v[105:106], v[132:133], v[89:90], v[180:181]
	v_fma_f64 v[132:133], v[136:137], v[81:82], v[182:183]
	v_mul_f64_e32 v[136:137], v[162:163], v[15:16]
	v_fma_f64 v[33:34], v[140:141], v[85:86], v[184:185]
	v_fma_f64 v[120:121], v[128:129], v[93:94], v[178:179]
	s_wait_dscnt 0x1
	v_mul_f64_e32 v[124:125], v[166:167], v[67:68]
	v_mul_f64_e32 v[184:185], v[148:149], v[7:8]
	v_fma_f64 v[7:8], v[112:113], v[9:10], -v[194:195]
	s_wait_loadcnt 0x6
	v_mul_f64_e32 v[204:205], v[27:28], v[47:48]
	v_mul_f64_e32 v[206:207], v[25:26], v[47:48]
	v_fma_f64 v[9:10], v[122:123], v[97:98], -v[99:100]
	v_fma_f64 v[97:98], v[126:127], v[93:94], -v[95:96]
	ds_load_b128 v[93:96], v0
	v_mul_f64_e32 v[128:129], v[168:169], v[67:68]
	v_mul_f64_e32 v[114:115], v[158:159], v[71:72]
	;; [unrolled: 1-line block ×3, first 2 shown]
	s_wait_dscnt 0x1
	v_mul_f64_e32 v[140:141], v[170:171], v[19:20]
	v_mul_f64_e32 v[176:177], v[172:173], v[19:20]
	;; [unrolled: 1-line block ×4, first 2 shown]
	v_fma_f64 v[15:16], v[156:157], v[73:74], v[190:191]
	v_mul_f64_e32 v[67:68], v[218:219], v[43:44]
	v_mul_f64_e32 v[202:203], v[216:217], v[43:44]
	v_fma_f64 v[110:111], v[118:119], v[101:102], -v[103:104]
	s_wait_loadcnt 0x4
	v_mul_f64_e32 v[208:209], v[31:32], v[51:52]
	v_mul_f64_e32 v[210:211], v[29:30], v[51:52]
	s_wait_loadcnt 0x2
	v_mul_f64_e32 v[212:213], v[23:24], v[55:56]
	v_fma_f64 v[180:181], v[108:109], v[61:62], -v[188:189]
	v_mul_f64_e32 v[108:109], v[21:22], v[55:56]
	s_wait_loadcnt 0x0
	v_mul_f64_e32 v[188:189], v[39:40], v[59:60]
	v_mul_f64_e32 v[214:215], v[37:38], v[59:60]
	v_fma_f64 v[51:52], v[130:131], v[89:90], -v[196:197]
	v_fma_f64 v[3:4], v[138:139], v[85:86], -v[87:88]
	;; [unrolled: 1-line block ×3, first 2 shown]
	v_dual_mov_b32 v47, v79 :: v_dual_mov_b32 v48, v80
	v_dual_mov_b32 v183, v64 :: v_dual_mov_b32 v182, v63
	v_fma_f64 v[112:113], v[162:163], v[13:14], -v[174:175]
	v_add_f64_e32 v[89:90], v[222:223], v[79:80]
	scratch_store_b64 off, v[47:48], off offset:200 ; 8-byte Folded Spill
	v_fma_f64 v[101:102], v[164:165], v[13:14], v[136:137]
	s_clause 0x2
	scratch_store_b64 off, v[182:183], off offset:164
	scratch_store_b64 off, v[105:106], off offset:140
	;; [unrolled: 1-line block ×3, first 2 shown]
	v_add_f64_e32 v[99:100], v[240:241], v[63:64]
	v_add_f64_e32 v[130:131], v[132:133], v[33:34]
	v_add_f64_e64 v[134:135], v[132:133], -v[33:34]
	v_fma_f64 v[190:191], v[150:151], v[77:78], -v[192:193]
	v_dual_mov_b32 v88, v10 :: v_dual_mov_b32 v87, v9
	v_add_f64_e32 v[103:104], v[120:121], v[105:106]
	v_fma_f64 v[220:221], v[152:153], v[77:78], v[186:187]
	v_fma_f64 v[116:117], v[160:161], v[69:70], v[114:115]
	v_fma_f64 v[114:115], v[158:159], v[69:70], -v[71:72]
	s_wait_dscnt 0x0
	v_add_f64_e32 v[55:56], v[95:96], v[132:133]
	v_fma_f64 v[13:14], v[170:171], v[17:18], -v[176:177]
	v_fma_f64 v[35:36], v[144:145], v[1:2], v[178:179]
	v_fma_f64 v[69:70], v[142:143], v[1:2], -v[19:20]
	scratch_store_b64 off, v[15:16], off offset:216 ; 8-byte Folded Spill
	v_fma_f64 v[15:16], v[154:155], v[73:74], -v[75:76]
	v_fma_f64 v[0:1], v[216:217], v[41:42], -v[67:68]
	scratch_store_b64 off, v[87:88], off offset:156 ; 8-byte Folded Spill
	v_add_f64_e32 v[33:34], v[81:82], v[3:4]
	v_add_f64_e32 v[59:60], v[93:94], v[81:82]
	v_mul_f64_e32 v[150:151], s[14:15], v[89:90]
	v_mul_f64_e32 v[160:161], s[34:35], v[89:90]
	;; [unrolled: 1-line block ×18, first 2 shown]
	scratch_store_b64 off, v[15:16], off offset:208 ; 8-byte Folded Spill
	v_fma_f64 v[15:16], v[168:169], v[65:66], v[124:125]
	v_mul_f64_e32 v[168:169], s[38:39], v[134:135]
	v_mul_f64_e32 v[142:143], s[10:11], v[99:100]
	;; [unrolled: 1-line block ×4, first 2 shown]
	v_fma_f64 v[198:199], v[33:34], s[16:17], v[77:78]
	v_fma_f64 v[77:78], v[33:34], s[16:17], -v[77:78]
	v_fma_f64 v[226:227], v[33:34], s[30:31], v[158:159]
	v_fma_f64 v[230:231], v[33:34], s[26:27], v[164:165]
	v_fma_f64 v[164:165], v[33:34], s[26:27], -v[164:165]
	v_fma_f64 v[158:159], v[33:34], s[30:31], -v[158:159]
	scratch_store_b64 off, v[15:16], off offset:232 ; 8-byte Folded Spill
	v_fma_f64 v[15:16], v[166:167], v[65:66], -v[128:129]
	v_fma_f64 v[234:235], v[33:34], s[22:23], v[168:169]
	v_fma_f64 v[168:169], v[33:34], s[22:23], -v[168:169]
	v_mul_f64_e32 v[166:167], s[22:23], v[130:131]
	v_add_f64_e32 v[198:199], v[93:94], v[198:199]
	v_add_f64_e32 v[77:78], v[93:94], v[77:78]
	;; [unrolled: 1-line block ×6, first 2 shown]
	scratch_store_b64 off, v[15:16], off offset:224 ; 8-byte Folded Spill
	v_fma_f64 v[15:16], v[172:173], v[17:18], v[140:141]
	v_dual_mov_b32 v19, v8 :: v_dual_mov_b32 v18, v7
	scratch_store_b64 off, v[0:1], off offset:4 ; 8-byte Folded Spill
	v_fma_f64 v[0:1], v[218:219], v[41:42], v[202:203]
	v_mul_f64_e32 v[41:42], s[34:35], v[99:100]
	v_mul_f64_e32 v[140:141], s[24:25], v[89:90]
	scratch_store_b64 off, v[18:19], off offset:124 ; 8-byte Folded Spill
	v_add_f64_e32 v[234:235], v[93:94], v[234:235]
	v_add_f64_e32 v[168:169], v[93:94], v[168:169]
	v_mul_f64_e32 v[172:173], s[10:11], v[103:104]
	scratch_store_b64 off, v[0:1], off offset:192 ; 8-byte Folded Spill
	v_fma_f64 v[0:1], v[25:26], v[45:46], -v[204:205]
	scratch_store_b64 off, v[15:16], off offset:248 ; 8-byte Folded Spill
	v_add_f64_e64 v[25:26], v[180:181], -v[18:19]
	v_fma_f64 v[16:17], v[148:149], v[5:6], v[11:12]
	v_mul_f64_e32 v[148:149], s[50:51], v[134:135]
	v_fma_f64 v[11:12], v[146:147], v[5:6], -v[184:185]
	v_mul_f64_e32 v[146:147], s[34:35], v[130:131]
	scratch_store_b64 off, v[0:1], off offset:52 ; 8-byte Folded Spill
	v_fma_f64 v[0:1], v[27:28], v[45:46], v[206:207]
	v_add_f64_e64 v[27:28], v[110:111], -v[9:10]
	v_mul_f64_e32 v[45:46], s[24:25], v[103:104]
	v_fma_f64 v[218:219], v[33:34], s[34:35], v[148:149]
	v_fma_f64 v[148:149], v[33:34], s[34:35], -v[148:149]
	v_mul_f64_e32 v[103:104], s[22:23], v[103:104]
	scratch_store_b64 off, v[0:1], off offset:172 ; 8-byte Folded Spill
	v_fma_f64 v[0:1], v[29:30], v[49:50], -v[208:209]
	v_add_f64_e64 v[29:30], v[97:98], -v[51:52]
	v_fma_f64 v[208:209], v[33:34], s[24:25], v[138:139]
	v_fma_f64 v[138:139], v[33:34], s[24:25], -v[138:139]
	v_add_f64_e32 v[218:219], v[93:94], v[218:219]
	v_add_f64_e32 v[148:149], v[93:94], v[148:149]
	v_fma_f64 v[242:243], v[27:28], s[62:63], v[170:171]
	v_fma_f64 v[248:249], v[27:28], s[40:41], v[176:177]
	;; [unrolled: 1-line block ×4, first 2 shown]
	scratch_store_b64 off, v[0:1], off offset:84 ; 8-byte Folded Spill
	v_fma_f64 v[0:1], v[31:32], v[49:50], v[210:211]
	v_add_f64_e64 v[31:32], v[81:82], -v[3:4]
	v_mul_f64_e32 v[81:82], s[16:17], v[89:90]
	v_mul_f64_e32 v[49:50], s[10:11], v[130:131]
	;; [unrolled: 1-line block ×3, first 2 shown]
	v_fma_f64 v[184:185], v[29:30], s[28:29], v[45:46]
	v_add_f64_e32 v[208:209], v[93:94], v[208:209]
	v_add_f64_e32 v[138:139], v[93:94], v[138:139]
	v_fma_f64 v[204:205], v[29:30], s[36:37], v[132:133]
	v_fma_f64 v[210:211], v[27:28], s[28:29], v[152:153]
	;; [unrolled: 1-line block ×6, first 2 shown]
	scratch_store_b64 off, v[0:1], off offset:92 ; 8-byte Folded Spill
	v_fma_f64 v[0:1], v[21:22], v[53:54], -v[212:213]
	scratch_store_b64 off, v[13:14], off offset:240 ; 8-byte Folded Spill
	v_dual_mov_b32 v21, v12 :: v_dual_mov_b32 v20, v11
	v_fma_f64 v[186:187], v[31:32], s[12:13], v[49:50]
	v_fma_f64 v[196:197], v[31:32], s[18:19], v[75:76]
	;; [unrolled: 1-line block ×17, first 2 shown]
	v_add_f64_e32 v[49:50], v[59:60], v[69:70]
	scratch_store_b64 off, v[0:1], off offset:36 ; 8-byte Folded Spill
	v_fma_f64 v[0:1], v[23:24], v[53:54], v[108:109]
	v_mul_f64_e32 v[53:54], s[54:55], v[134:135]
	v_mul_f64_e32 v[134:135], s[36:37], v[134:135]
	;; [unrolled: 1-line block ×4, first 2 shown]
	v_add_f64_e32 v[186:187], v[95:96], v[186:187]
	v_add_f64_e32 v[196:197], v[95:96], v[196:197]
	;; [unrolled: 1-line block ×16, first 2 shown]
	v_fma_f64 v[95:96], v[29:30], s[44:45], v[178:179]
	v_add_f64_e32 v[49:50], v[49:50], v[97:98]
	scratch_store_b64 off, v[0:1], off offset:76 ; 8-byte Folded Spill
	v_fma_f64 v[0:1], v[37:38], v[57:58], -v[188:189]
	v_fma_f64 v[188:189], v[33:34], s[10:11], v[53:54]
	v_fma_f64 v[238:239], v[33:34], s[14:15], v[134:135]
	v_fma_f64 v[134:135], v[33:34], s[14:15], -v[134:135]
	v_fma_f64 v[33:34], v[33:34], s[10:11], -v[53:54]
	v_fma_f64 v[252:253], v[27:28], s[42:43], v[108:109]
	v_fma_f64 v[118:119], v[27:28], s[58:59], v[99:100]
	;; [unrolled: 1-line block ×4, first 2 shown]
	scratch_store_b64 off, v[0:1], off offset:20 ; 8-byte Folded Spill
	v_fma_f64 v[0:1], v[39:40], v[57:58], v[214:215]
	v_mul_f64_e32 v[39:40], s[30:31], v[89:90]
	v_mul_f64_e32 v[57:58], s[22:23], v[89:90]
	v_mul_f64_e32 v[89:90], s[26:27], v[89:90]
	v_add_f64_e32 v[188:189], v[93:94], v[188:189]
	v_add_f64_e32 v[238:239], v[93:94], v[238:239]
	;; [unrolled: 1-line block ×4, first 2 shown]
	v_fma_f64 v[93:94], v[29:30], s[60:61], v[45:46]
	v_add_f64_e32 v[45:46], v[35:36], v[16:17]
	v_fma_f64 v[214:215], v[29:30], s[42:43], v[144:145]
	v_fma_f64 v[144:145], v[29:30], s[56:57], v[144:145]
	scratch_store_b64 off, v[0:1], off offset:68 ; 8-byte Folded Spill
	v_fma_f64 v[0:1], v[25:26], s[56:57], v[39:40]
	s_clause 0x3
	scratch_store_b64 off, v[51:52], off offset:148
	scratch_store_b64 off, v[3:4], off offset:44
	;; [unrolled: 1-line block ×4, first 2 shown]
	v_mul_f64_e32 v[176:177], s[26:27], v[45:46]
	v_mul_f64_e32 v[6:7], s[22:23], v[45:46]
	;; [unrolled: 1-line block ×4, first 2 shown]
	scratch_store_b64 off, v[0:1], off offset:256 ; 8-byte Folded Spill
	v_fma_f64 v[0:1], v[27:28], s[44:45], v[41:42]
	scratch_store_b64 off, v[0:1], off offset:400 ; 8-byte Folded Spill
	v_fma_f64 v[0:1], v[25:26], s[38:39], v[57:58]
	;; [unrolled: 2-line block ×10, first 2 shown]
	v_fma_f64 v[89:90], v[29:30], s[40:41], v[73:74]
	scratch_store_b64 off, v[0:1], off offset:360 ; 8-byte Folded Spill
	v_fma_f64 v[0:1], v[25:26], s[54:55], v[174:175]
	v_fma_f64 v[174:175], v[27:28], s[12:13], v[142:143]
	scratch_store_b64 off, v[0:1], off offset:352 ; 8-byte Folded Spill
	v_fma_f64 v[0:1], v[25:26], s[44:45], v[160:161]
	v_fma_f64 v[160:161], v[29:30], s[54:55], v[172:173]
	v_mul_f64_e32 v[172:173], s[34:35], v[45:46]
	scratch_store_b64 off, v[0:1], off offset:344 ; 8-byte Folded Spill
	v_fma_f64 v[0:1], v[25:26], s[36:37], v[150:151]
	v_fma_f64 v[150:151], v[27:28], s[60:61], v[152:153]
	;; [unrolled: 1-line block ×3, first 2 shown]
	v_mul_f64_e32 v[178:179], s[14:15], v[45:46]
	scratch_store_b64 off, v[0:1], off offset:336 ; 8-byte Folded Spill
	v_fma_f64 v[0:1], v[25:26], s[60:61], v[140:141]
	v_fma_f64 v[140:141], v[27:28], s[38:39], v[170:171]
	;; [unrolled: 1-line block ×3, first 2 shown]
	v_mul_f64_e32 v[132:133], s[16:17], v[45:46]
	v_mul_f64_e32 v[45:46], s[10:11], v[45:46]
	scratch_store_b64 off, v[0:1], off offset:328 ; 8-byte Folded Spill
	v_fma_f64 v[0:1], v[25:26], s[18:19], v[81:82]
	v_fma_f64 v[81:82], v[29:30], s[62:63], v[103:104]
	;; [unrolled: 1-line block ×3, first 2 shown]
	scratch_store_b64 off, v[0:1], off offset:320 ; 8-byte Folded Spill
	v_fma_f64 v[0:1], v[25:26], s[62:63], v[57:58]
	scratch_store_b64 off, v[0:1], off offset:312 ; 8-byte Folded Spill
	v_fma_f64 v[0:1], v[25:26], s[42:43], v[39:40]
	;; [unrolled: 2-line block ×3, first 2 shown]
	scratch_store_b64 off, v[0:1], off offset:432 ; 8-byte Folded Spill
	v_add_f64_e64 v[0:1], v[69:70], -v[20:21]
	s_delay_alu instid0(VALU_DEP_1)
	v_fma_f64 v[22:23], v[0:1], s[18:19], v[132:133]
	v_fma_f64 v[71:72], v[0:1], s[58:59], v[132:133]
	v_add_f64_e64 v[132:133], v[222:223], -v[47:48]
	v_fma_f64 v[63:64], v[0:1], s[54:55], v[45:46]
	v_fma_f64 v[73:74], v[0:1], s[12:13], v[45:46]
	;; [unrolled: 1-line block ×14, first 2 shown]
	v_add_f64_e32 v[0:1], v[180:181], v[18:19]
	v_add_f64_e32 v[22:23], v[22:23], v[186:187]
	;; [unrolled: 1-line block ×3, first 2 shown]
	v_mul_f64_e32 v[2:3], s[54:55], v[132:133]
	v_mul_f64_e32 v[4:5], s[44:45], v[132:133]
	;; [unrolled: 1-line block ×8, first 2 shown]
	v_add_f64_e32 v[41:42], v[41:42], v[224:225]
	v_add_f64_e32 v[39:40], v[39:40], v[216:217]
	;; [unrolled: 1-line block ×16, first 2 shown]
	v_fma_f64 v[142:143], v[0:1], s[10:11], v[2:3]
	v_fma_f64 v[2:3], v[0:1], s[10:11], -v[2:3]
	v_fma_f64 v[130:131], v[0:1], s[14:15], v[6:7]
	v_fma_f64 v[128:129], v[0:1], s[24:25], v[8:9]
	v_fma_f64 v[124:125], v[0:1], s[16:17], v[10:11]
	v_fma_f64 v[99:100], v[0:1], s[30:31], v[14:15]
	v_fma_f64 v[108:109], v[0:1], s[22:23], v[12:13]
	v_fma_f64 v[201:202], v[0:1], s[26:27], v[132:133]
	v_fma_f64 v[254:255], v[0:1], s[26:27], -v[132:133]
	v_fma_f64 v[132:133], v[0:1], s[34:35], v[4:5]
	v_add_f64_e32 v[26:27], v[194:195], v[26:27]
	v_add_f64_e32 v[65:66], v[154:155], v[65:66]
	scratch_store_b64 off, v[2:3], off offset:440 ; 8-byte Folded Spill
	v_fma_f64 v[2:3], v[0:1], s[34:35], -v[4:5]
	v_add_f64_e32 v[65:66], v[150:151], v[65:66]
	scratch_store_b64 off, v[2:3], off offset:424 ; 8-byte Folded Spill
	v_fma_f64 v[2:3], v[0:1], s[14:15], -v[6:7]
	scratch_store_b64 off, v[2:3], off offset:408 ; 8-byte Folded Spill
	v_fma_f64 v[2:3], v[0:1], s[24:25], -v[8:9]
	;; [unrolled: 2-line block ×4, first 2 shown]
	v_fma_f64 v[0:1], v[0:1], s[30:31], -v[14:15]
	v_add_f64_e64 v[14:15], v[35:36], -v[16:17]
	v_add_f64_e32 v[12:13], v[55:56], v[35:36]
	v_add_f64_e32 v[55:56], v[69:70], v[20:21]
	s_clause 0x1
	scratch_store_b64 off, v[2:3], off offset:376
	scratch_store_b64 off, v[0:1], off offset:132
	v_mul_f64_e32 v[59:60], s[12:13], v[14:15]
	v_mul_f64_e32 v[69:70], s[28:29], v[14:15]
	;; [unrolled: 1-line block ×8, first 2 shown]
	v_add_f64_e32 v[12:13], v[12:13], v[120:121]
	v_fma_f64 v[24:25], v[55:56], s[10:11], v[59:60]
	v_fma_f64 v[59:60], v[55:56], s[10:11], -v[59:60]
	v_fma_f64 v[20:21], v[55:56], s[24:25], v[69:70]
	v_fma_f64 v[69:70], v[55:56], s[24:25], -v[69:70]
	;; [unrolled: 2-line block ×8, first 2 shown]
	v_add_f64_e64 v[55:56], v[120:121], -v[105:106]
	v_add_f64_e32 v[12:13], v[12:13], v[240:241]
	v_add_f64_e32 v[24:25], v[24:25], v[238:239]
	;; [unrolled: 1-line block ×17, first 2 shown]
	v_mul_f64_e32 v[106:107], s[60:61], v[55:56]
	v_mul_f64_e32 v[186:187], s[40:41], v[55:56]
	;; [unrolled: 1-line block ×8, first 2 shown]
	v_add_f64_e32 v[12:13], v[12:13], v[222:223]
	v_add_f64_e32 v[20:21], v[20:21], v[234:235]
	v_fma_f64 v[0:1], v[216:217], s[24:25], v[106:107]
	v_fma_f64 v[2:3], v[216:217], s[26:27], v[186:187]
	;; [unrolled: 1-line block ×6, first 2 shown]
	v_fma_f64 v[206:207], v[216:217], s[10:11], -v[206:207]
	v_fma_f64 v[218:219], v[216:217], s[22:23], v[55:56]
	v_fma_f64 v[55:56], v[216:217], s[22:23], -v[55:56]
	v_fma_f64 v[224:225], v[216:217], s[34:35], v[208:209]
	v_fma_f64 v[208:209], v[216:217], s[34:35], -v[208:209]
	v_fma_f64 v[196:197], v[216:217], s[30:31], -v[196:197]
	;; [unrolled: 1-line block ×6, first 2 shown]
	v_add_f64_e32 v[0:1], v[0:1], v[34:35]
	v_add_f64_e32 v[34:35], v[204:205], v[37:38]
	;; [unrolled: 1-line block ×3, first 2 shown]
	v_add_f64_e64 v[38:39], v[240:241], -v[182:183]
	v_add_f64_e32 v[2:3], v[2:3], v[43:44]
	v_add_f64_e32 v[4:5], v[4:5], v[45:46]
	;; [unrolled: 1-line block ×8, first 2 shown]
	scratch_load_b64 v[75:76], off, off offset:400 th:TH_LOAD_LU ; 8-byte Folded Reload
	v_add_f64_e32 v[18:19], v[53:54], v[18:19]
	v_add_f64_e32 v[53:54], v[81:82], v[63:64]
	;; [unrolled: 1-line block ×5, first 2 shown]
	scratch_load_b64 v[95:96], off, off offset:248 th:TH_LOAD_LU ; 8-byte Folded Reload
	v_add_f64_e32 v[61:62], v[208:209], v[69:70]
	v_add_f64_e32 v[32:33], v[196:197], v[32:33]
	;; [unrolled: 1-line block ×13, first 2 shown]
	v_mul_f64_e32 v[44:45], s[18:19], v[38:39]
	v_mul_f64_e32 v[49:50], s[52:53], v[38:39]
	;; [unrolled: 1-line block ×8, first 2 shown]
	v_add_f64_e32 v[59:60], v[126:127], v[59:60]
	v_add_f64_e32 v[40:41], v[40:41], v[180:181]
	scratch_load_b64 v[126:127], off, off offset:408 th:TH_LOAD_LU ; 8-byte Folded Reload
	v_add_f64_e32 v[53:54], v[118:119], v[53:54]
	scratch_load_b64 v[119:120], off, off offset:232 th:TH_LOAD_LU ; 8-byte Folded Reload
	v_add_f64_e32 v[51:52], v[248:249], v[51:52]
	v_add_f64_e32 v[63:64], v[140:141], v[63:64]
	v_add_f64_e32 v[67:68], v[174:175], v[67:68]
	v_add_f64_e32 v[69:70], v[192:193], v[69:70]
	v_fma_f64 v[136:137], v[42:43], s[16:17], v[44:45]
	v_fma_f64 v[44:45], v[42:43], s[16:17], -v[44:45]
	v_fma_f64 v[138:139], v[42:43], s[26:27], v[49:50]
	v_fma_f64 v[49:50], v[42:43], s[26:27], -v[49:50]
	;; [unrolled: 2-line block ×8, first 2 shown]
	v_add_f64_e32 v[42:43], v[244:245], v[57:58]
	v_add_f64_e32 v[57:58], v[103:104], v[73:74]
	;; [unrolled: 1-line block ×3, first 2 shown]
	scratch_load_b32 v90, off, off offset:180 th:TH_LOAD_LU ; 4-byte Folded Reload
	v_add_f64_e32 v[40:41], v[40:41], v[112:113]
	v_add_f64_e32 v[24:25], v[136:137], v[24:25]
	;; [unrolled: 1-line block ×6, first 2 shown]
	scratch_load_b64 v[77:78], off, off offset:208 th:TH_LOAD_LU ; 8-byte Folded Reload
	v_add_f64_e32 v[16:17], v[148:149], v[16:17]
	v_add_f64_e32 v[6:7], v[156:157], v[6:7]
	;; [unrolled: 1-line block ×4, first 2 shown]
	scratch_load_b64 v[83:84], off, off offset:256 th:TH_LOAD_LU ; 8-byte Folded Reload
	v_add_f64_e32 v[28:29], v[79:80], v[28:29]
	v_add_f64_e32 v[46:47], v[91:92], v[46:47]
	;; [unrolled: 1-line block ×6, first 2 shown]
	scratch_load_b64 v[121:122], off, off offset:216 th:TH_LOAD_LU ; 8-byte Folded Reload
	v_add_f64_e32 v[73:74], v[246:247], v[73:74]
	v_add_f64_e32 v[40:41], v[40:41], v[114:115]
	scratch_load_b64 v[110:111], off, off offset:368 th:TH_LOAD_LU ; 8-byte Folded Reload
	v_add_f64_e32 v[0:1], v[164:165], v[0:1]
	v_add_f64_e32 v[2:3], v[162:163], v[2:3]
	;; [unrolled: 3-line block ×3, first 2 shown]
	v_add_f64_e32 v[15:16], v[130:131], v[16:17]
	v_add_f64_e32 v[6:7], v[128:129], v[6:7]
	scratch_load_b64 v[128:129], off, off offset:392 th:TH_LOAD_LU ; 8-byte Folded Reload
	v_add_f64_e32 v[4:5], v[124:125], v[4:5]
	s_clause 0x1
	scratch_load_b64 v[124:125], off, off offset:424 th:TH_LOAD_LU
	scratch_load_b64 v[130:131], off, off offset:320 th:TH_LOAD_LU
	v_add_f64_e32 v[17:18], v[132:133], v[18:19]
	scratch_load_b64 v[132:133], off, off offset:384 th:TH_LOAD_LU ; 8-byte Folded Reload
	v_add_f64_e32 v[19:20], v[142:143], v[20:21]
	v_add_f64_e32 v[40:41], v[40:41], v[190:191]
	;; [unrolled: 1-line block ×4, first 2 shown]
	s_wait_loadcnt 0xd
	v_add_f64_e32 v[22:23], v[75:76], v[22:23]
	scratch_load_b64 v[75:76], off, off offset:416 th:TH_LOAD_LU ; 8-byte Folded Reload
	s_wait_loadcnt 0xc
	v_add_f64_e32 v[28:29], v[126:127], v[28:29]
	scratch_load_b64 v[126:127], off, off offset:328 th:TH_LOAD_LU ; 8-byte Folded Reload
	s_wait_loadcnt 0xc
	v_dual_mov_b32 v219, v120 :: v_dual_mov_b32 v218, v119
	v_add_f64_e32 v[55:56], v[116:117], v[119:120]
	s_delay_alu instid0(VALU_DEP_1)
	v_mul_f64_e32 v[186:187], s[22:23], v[55:56]
	s_wait_loadcnt 0xb
	v_add_nc_u32_e32 v87, 0x44, v90
	v_add_nc_u32_e32 v88, 51, v90
	;; [unrolled: 1-line block ×5, first 2 shown]
	v_mul_lo_u32 v93, v200, v87
	v_mul_lo_u32 v94, v200, v88
	v_add_f64_e32 v[87:88], v[12:13], v[101:102]
	scratch_load_b64 v[12:13], off, off offset:224 th:TH_LOAD_LU ; 8-byte Folded Reload
	v_mul_lo_u32 v48, v200, v48
	v_mul_lo_u32 v81, v200, v81
	;; [unrolled: 1-line block ×3, first 2 shown]
	v_add_nc_u32_e32 v86, 0x55, v90
	v_and_b32_e32 v173, 0xff, v93
	v_lshrrev_b32_e32 v176, 4, v93
	v_and_b32_e32 v177, 0xff, v94
	v_lshrrev_b32_e32 v178, 4, v94
	;; [unrolled: 2-line block ×5, first 2 shown]
	v_and_b32_e32 v181, 0xff0, v48
	v_add_f64_e32 v[48:49], v[49:50], v[61:62]
	v_add_f64_e64 v[93:94], v[116:117], -v[119:120]
	s_wait_loadcnt 0xb
	v_dual_mov_b32 v217, v78 :: v_dual_mov_b32 v216, v77
	v_mul_lo_u32 v86, v200, v86
	v_add_nc_u32_e32 v89, 34, v90
	v_mov_b32_e32 v251, v90
	v_and_b32_e32 v233, 0xff0, v106
	v_lshlrev_b32_e32 v180, 4, v97
	v_lshlrev_b32_e32 v184, 4, v98
	v_mul_lo_u32 v242, v200, v89
	scratch_load_b64 v[97:98], off, off offset:288 th:TH_LOAD_LU ; 8-byte Folded Reload
	v_and_b32_e32 v171, 0xff, v86
	s_wait_loadcnt 0xa
	v_mov_b32_e32 v197, v122
	v_add_f64_e32 v[81:82], v[220:221], v[121:122]
	v_add_f64_e64 v[61:62], v[220:221], -v[121:122]
	v_mov_b32_e32 v196, v121
	scratch_load_b64 v[120:121], off, off offset:440 th:TH_LOAD_LU ; 8-byte Folded Reload
	v_lshrrev_b32_e32 v172, 4, v86
	scratch_load_b64 v[122:123], off, off offset:344 th:TH_LOAD_LU ; 8-byte Folded Reload
	v_and_b32_e32 v185, 0xff0, v103
	v_lshlrev_b32_e32 v232, 4, v104
	v_add_f64_e64 v[138:139], v[190:191], -v[77:78]
	v_add_f64_e32 v[140:141], v[190:191], v[77:78]
	v_add_f64_e32 v[22:23], v[83:84], v[22:23]
	;; [unrolled: 1-line block ×3, first 2 shown]
	v_and_b32_e32 v246, 0xff0, v172
	v_lshlrev_b32_e32 v247, 4, v173
	v_and_b32_e32 v248, 0xff0, v176
	v_lshlrev_b32_e32 v249, 4, v177
	;; [unrolled: 2-line block ×3, first 2 shown]
	v_mul_f64_e32 v[150:151], s[38:39], v[93:94]
	v_mul_f64_e32 v[160:161], s[28:29], v[93:94]
	;; [unrolled: 1-line block ×3, first 2 shown]
	s_wait_loadcnt 0x9
	v_add_f64_e32 v[32:33], v[128:129], v[32:33]
	v_mul_f64_e32 v[128:129], s[34:35], v[55:56]
	s_wait_loadcnt 0x8
	v_add_f64_e32 v[30:31], v[124:125], v[30:31]
	scratch_load_b64 v[124:125], off, off offset:336 th:TH_LOAD_LU ; 8-byte Folded Reload
	v_mul_f64_e32 v[182:183], s[14:15], v[81:82]
	v_mul_f64_e32 v[144:145], s[36:37], v[61:62]
	;; [unrolled: 1-line block ×13, first 2 shown]
	v_fma_f64 v[142:143], v[138:139], s[36:37], v[182:183]
	s_delay_alu instid0(VALU_DEP_2)
	v_fma_f64 v[224:225], v[140:141], s[34:35], v[216:217]
	s_wait_loadcnt 0x6
	v_add_f64_e32 v[26:27], v[75:76], v[26:27]
	v_add_f64_e32 v[75:76], v[210:211], v[10:11]
	v_add_nc_u32_e32 v10, 0x88, v90
	v_add_nc_u32_e32 v11, 0x77, v90
	v_mul_f64_e32 v[210:211], s[42:43], v[61:62]
	s_delay_alu instid0(VALU_DEP_3) | instskip(NEXT) | instid1(VALU_DEP_3)
	v_mul_lo_u32 v10, v200, v10
	v_mul_lo_u32 v11, v200, v11
	s_delay_alu instid0(VALU_DEP_2) | instskip(SKIP_1) | instid1(VALU_DEP_3)
	v_and_b32_e32 v107, 0xff, v10
	v_lshrrev_b32_e32 v10, 4, v10
	v_and_b32_e32 v134, 0xff, v11
	v_lshrrev_b32_e32 v11, 4, v11
	s_delay_alu instid0(VALU_DEP_4) | instskip(NEXT) | instid1(VALU_DEP_4)
	v_lshlrev_b32_e32 v234, 4, v107
	v_and_b32_e32 v235, 0xff0, v10
	s_delay_alu instid0(VALU_DEP_4) | instskip(NEXT) | instid1(VALU_DEP_4)
	v_lshlrev_b32_e32 v236, 4, v134
	v_and_b32_e32 v237, 0xff0, v11
	scratch_load_b64 v[10:11], off, off offset:240 th:TH_LOAD_LU ; 8-byte Folded Reload
	v_add_nc_u32_e32 v85, 0x66, v90
	v_add_f64_e64 v[89:90], v[101:102], -v[95:96]
	s_clause 0x1
	scratch_load_b64 v[134:135], off, off offset:312 th:TH_LOAD_LU
	scratch_load_b64 v[105:106], off, off offset:296 th:TH_LOAD_LU
	v_dual_mov_b32 v229, v96 :: v_dual_mov_b32 v228, v95
	v_add_f64_e32 v[130:131], v[130:131], v[69:70]
	s_wait_loadcnt 0x8
	v_add_f64_e32 v[67:68], v[126:127], v[67:68]
	v_fma_f64 v[190:191], v[140:141], s[30:31], v[210:211]
	v_mul_f64_e32 v[162:163], s[40:41], v[89:90]
	v_mul_f64_e32 v[99:100], s[58:59], v[89:90]
	;; [unrolled: 1-line block ×5, first 2 shown]
	s_wait_loadcnt 0x7
	v_dual_mov_b32 v175, v13 :: v_dual_mov_b32 v174, v12
	v_mul_lo_u32 v85, v200, v85
	v_add_f64_e64 v[166:167], v[114:115], -v[12:13]
	v_add_f64_e32 v[148:149], v[114:115], v[12:13]
	v_add_f64_e32 v[13:14], v[87:88], v[116:117]
	scratch_load_b64 v[87:88], off, off offset:264 th:TH_LOAD_LU ; 8-byte Folded Reload
	v_and_b32_e32 v118, 0xff, v85
	v_lshrrev_b32_e32 v170, 4, v85
	v_add_f64_e32 v[85:86], v[101:102], v[95:96]
	s_clause 0x1
	scratch_load_b64 v[101:102], off, off offset:304 th:TH_LOAD_LU
	scratch_load_b64 v[95:96], off, off offset:280 th:TH_LOAD_LU
	v_lshlrev_b32_e32 v238, 4, v118
	scratch_load_b64 v[118:119], off, off offset:352 th:TH_LOAD_LU ; 8-byte Folded Reload
	v_add_f64_e32 v[34:35], v[91:92], v[34:35]
	s_wait_loadcnt 0xa
	v_add_f64_e32 v[75:76], v[97:98], v[75:76]
	s_wait_loadcnt 0x9
	v_add_f64_e32 v[48:49], v[120:121], v[48:49]
	v_mul_f64_e32 v[120:121], s[24:25], v[55:56]
	s_wait_loadcnt 0x8
	v_add_f64_e32 v[63:64], v[122:123], v[63:64]
	v_add_f64_e32 v[13:14], v[13:14], v[220:221]
	v_mul_f64_e32 v[188:189], s[26:27], v[85:86]
	v_mul_f64_e32 v[77:78], s[10:11], v[85:86]
	;; [unrolled: 1-line block ×5, first 2 shown]
	s_wait_loadcnt 0x7
	v_add_f64_e32 v[65:66], v[124:125], v[65:66]
	v_add_f64_e32 v[13:14], v[13:14], v[196:197]
	v_mul_f64_e32 v[196:197], s[16:17], v[81:82]
	s_delay_alu instid0(VALU_DEP_2) | instskip(SKIP_1) | instid1(VALU_DEP_2)
	v_add_f64_e32 v[13:14], v[13:14], v[218:219]
	v_mul_f64_e32 v[218:219], s[34:35], v[81:82]
	v_add_f64_e32 v[228:229], v[13:14], v[228:229]
	s_delay_alu instid0(VALU_DEP_2)
	v_fma_f64 v[222:223], v[138:139], s[50:51], v[218:219]
	s_wait_loadcnt 0x6
	v_mov_b32_e32 v253, v11
	v_add_f64_e64 v[168:169], v[112:113], -v[10:11]
	v_add_f64_e32 v[154:155], v[112:113], v[10:11]
	s_wait_loadcnt 0x5
	v_add_f64_e32 v[192:193], v[134:135], v[73:74]
	s_clause 0x1
	scratch_load_b64 v[73:74], off, off offset:376 th:TH_LOAD_LU
	scratch_load_b64 v[114:115], off, off offset:360 th:TH_LOAD_LU
	v_mov_b32_e32 v252, v10
	scratch_load_b64 v[10:11], off, off offset:432 th:TH_LOAD_LU ; 8-byte Folded Reload
	s_wait_loadcnt 0x7
	v_add_f64_e32 v[50:51], v[105:106], v[51:52]
	v_add_f64_e32 v[132:133], v[132:133], v[46:47]
	;; [unrolled: 1-line block ×3, first 2 shown]
	v_fma_f64 v[106:107], v[168:169], s[52:53], v[188:189]
	v_fma_f64 v[108:109], v[154:155], s[26:27], v[162:163]
	;; [unrolled: 1-line block ×6, first 2 shown]
	v_fma_f64 v[103:104], v[154:155], s[14:15], -v[103:104]
	v_fma_f64 v[91:92], v[168:169], s[44:45], v[91:92]
	v_fma_f64 v[112:113], v[154:155], s[30:31], v[38:39]
	;; [unrolled: 1-line block ×4, first 2 shown]
	v_fma_f64 v[99:100], v[154:155], s[16:17], -v[99:100]
	v_fma_f64 v[244:245], v[154:155], s[30:31], -v[38:39]
	s_wait_loadcnt 0x6
	v_add_f64_e32 v[26:27], v[87:88], v[26:27]
	v_mul_f64_e32 v[87:88], s[38:39], v[89:90]
	v_add_f64_e32 v[21:22], v[106:107], v[22:23]
	v_add_f64_e32 v[0:1], v[108:109], v[0:1]
	v_fma_f64 v[108:109], v[166:167], s[62:63], v[186:187]
	v_add_f64_e32 v[17:18], v[46:47], v[17:18]
	v_mul_f64_e32 v[46:47], s[36:37], v[93:94]
	v_add_f64_e32 v[19:20], v[134:135], v[19:20]
	s_wait_loadcnt 0x4
	v_add_f64_e32 v[36:37], v[95:96], v[36:37]
	v_mul_f64_e32 v[95:96], s[44:45], v[89:90]
	v_mul_f64_e32 v[89:90], s[28:29], v[89:90]
	s_wait_loadcnt 0x3
	v_add_f64_e32 v[59:60], v[118:119], v[59:60]
	v_fma_f64 v[118:119], v[168:169], s[62:63], v[83:84]
	v_fma_f64 v[83:84], v[168:169], s[38:39], v[83:84]
	v_mul_f64_e32 v[134:135], s[18:19], v[93:94]
	v_add_f64_e32 v[75:76], v[124:125], v[75:76]
	v_fma_f64 v[124:125], v[166:167], s[44:45], v[128:129]
	v_add_f64_e32 v[42:43], v[101:102], v[42:43]
	v_mul_f64_e32 v[101:102], s[14:15], v[85:86]
	v_mul_f64_e32 v[106:107], s[26:27], v[55:56]
	v_add_f64_e32 v[4:5], v[116:117], v[4:5]
	v_mul_f64_e32 v[116:117], s[10:11], v[55:56]
	v_add_f64_e32 v[48:49], v[103:104], v[48:49]
	v_add_f64_e32 v[65:66], v[91:92], v[65:66]
	;; [unrolled: 1-line block ×3, first 2 shown]
	v_fma_f64 v[112:113], v[148:149], s[24:25], v[160:161]
	v_add_f64_e32 v[63:64], v[97:98], v[63:64]
	v_add_f64_e32 v[30:31], v[99:100], v[30:31]
	v_fma_f64 v[97:98], v[138:139], s[62:63], v[158:159]
	v_fma_f64 v[103:104], v[140:141], s[16:17], v[198:199]
	v_fma_f64 v[198:199], v[140:141], s[16:17], -v[198:199]
	v_fma_f64 v[158:159], v[138:139], s[38:39], v[158:159]
	v_fma_f64 v[122:123], v[154:155], s[22:23], v[87:88]
	v_fma_f64 v[87:88], v[154:155], s[22:23], -v[87:88]
	v_add_f64_e32 v[21:22], v[108:109], v[21:22]
	v_fma_f64 v[108:109], v[138:139], s[64:65], v[182:183]
	v_fma_f64 v[126:127], v[154:155], s[34:35], v[95:96]
	v_fma_f64 v[95:96], v[154:155], s[34:35], -v[95:96]
	v_add_f64_e32 v[36:37], v[118:119], v[36:37]
	v_mul_f64_e32 v[118:119], s[54:55], v[93:94]
	v_add_f64_e32 v[214:215], v[83:84], v[67:68]
	v_fma_f64 v[81:82], v[148:149], s[16:17], -v[134:135]
	v_add_f64_e32 v[42:43], v[69:70], v[42:43]
	v_fma_f64 v[69:70], v[166:167], s[60:61], v[120:121]
	v_add_f64_e32 v[2:3], v[112:113], v[2:3]
	v_fma_f64 v[112:113], v[140:141], s[10:11], v[152:153]
	v_add_f64_e32 v[6:7], v[122:123], v[6:7]
	v_add_f64_e32 v[212:213], v[87:88], v[32:33]
	v_fma_f64 v[87:88], v[148:149], s[14:15], v[46:47]
	v_mul_f64_e32 v[122:123], s[14:15], v[55:56]
	v_fma_f64 v[32:33], v[166:167], s[12:13], v[116:117]
	v_fma_f64 v[46:47], v[148:149], s[14:15], -v[46:47]
	v_add_f64_e32 v[15:16], v[126:127], v[15:16]
	v_fma_f64 v[67:68], v[148:149], s[10:11], v[118:119]
	v_fma_f64 v[99:100], v[148:149], s[10:11], -v[118:119]
	v_fma_f64 v[118:119], v[140:141], s[26:27], v[202:203]
	v_fma_f64 v[202:203], v[140:141], s[26:27], -v[202:203]
	v_add_f64_e32 v[112:113], v[112:113], v[2:3]
	v_add_f64_e32 v[87:88], v[87:88], v[17:18]
	v_fma_f64 v[83:84], v[166:167], s[64:65], v[122:123]
	v_add_f64_e32 v[75:76], v[32:33], v[75:76]
	v_add_f64_e32 v[176:177], v[46:47], v[30:31]
	;; [unrolled: 1-line block ×3, first 2 shown]
	s_delay_alu instid0(VALU_DEP_4)
	v_add_f64_e32 v[83:84], v[83:84], v[42:43]
	s_wait_loadcnt 0x2
	v_add_f64_e32 v[226:227], v[73:74], v[8:9]
	s_wait_loadcnt 0x1
	v_add_f64_e32 v[57:58], v[114:115], v[57:58]
	v_fma_f64 v[114:115], v[168:169], s[12:13], v[77:78]
	s_wait_loadcnt 0x0
	v_add_f64_e32 v[11:12], v[10:11], v[71:72]
	v_mul_f64_e32 v[71:72], s[30:31], v[85:86]
	v_mul_f64_e32 v[85:86], s[24:25], v[85:86]
	v_fma_f64 v[73:74], v[168:169], s[64:65], v[101:102]
	v_mul_f64_e32 v[9:10], s[50:51], v[93:94]
	v_fma_f64 v[101:102], v[168:169], s[36:37], v[101:102]
	v_mul_f64_e32 v[93:94], s[42:43], v[93:94]
	v_and_b32_e32 v8, 0xff0, v170
	v_fma_f64 v[77:78], v[168:169], s[54:55], v[77:78]
	v_add_f64_e32 v[226:227], v[244:245], v[226:227]
	v_add_f64_e32 v[34:35], v[114:115], v[34:35]
	v_fma_f64 v[114:115], v[154:155], s[24:25], v[89:90]
	v_fma_f64 v[110:111], v[168:169], s[42:43], v[71:72]
	;; [unrolled: 1-line block ×4, first 2 shown]
	v_fma_f64 v[89:90], v[154:155], s[24:25], -v[89:90]
	v_add_f64_e32 v[50:51], v[73:74], v[50:51]
	v_mul_f64_e32 v[73:74], s[16:17], v[55:56]
	v_mul_f64_e32 v[54:55], s[30:31], v[55:56]
	v_fma_f64 v[126:127], v[148:149], s[34:35], v[9:10]
	v_fma_f64 v[2:3], v[148:149], s[30:31], v[93:94]
	;; [unrolled: 1-line block ×3, first 2 shown]
	v_fma_f64 v[9:10], v[148:149], s[34:35], -v[9:10]
	v_add_f64_e32 v[34:35], v[124:125], v[34:35]
	v_add_f64_e32 v[23:24], v[114:115], v[24:25]
	;; [unrolled: 1-line block ×3, first 2 shown]
	v_fma_f64 v[21:22], v[148:149], s[16:17], v[134:135]
	v_add_f64_e32 v[26:27], v[110:111], v[26:27]
	v_fma_f64 v[110:111], v[148:149], s[22:23], v[150:151]
	v_add_f64_e32 v[56:57], v[85:86], v[57:58]
	v_add_f64_e32 v[44:45], v[89:90], v[44:45]
	;; [unrolled: 1-line block ×3, first 2 shown]
	v_fma_f64 v[91:92], v[166:167], s[58:59], v[73:74]
	v_fma_f64 v[60:61], v[148:149], s[30:31], -v[93:94]
	v_fma_f64 v[73:74], v[166:167], s[18:19], v[73:74]
	v_add_f64_e32 v[52:53], v[136:137], v[52:53]
	v_fma_f64 v[85:86], v[138:139], s[54:55], v[146:147]
	v_add_f64_e32 v[89:90], v[95:96], v[28:29]
	v_add_f64_e32 v[4:5], v[126:127], v[4:5]
	v_fma_f64 v[93:94], v[166:167], s[36:37], v[122:123]
	v_fma_f64 v[95:96], v[166:167], s[54:55], v[116:117]
	;; [unrolled: 1-line block ×8, first 2 shown]
	v_add_f64_e32 v[220:221], v[97:98], v[34:35]
	v_add_f64_e32 v[2:3], v[2:3], v[23:24]
	v_add_f64_e32 v[124:125], v[21:22], v[19:20]
	s_clause 0x1
	global_load_b128 v[13:16], v180, s[8:9]
	global_load_b128 v[17:20], v181, s[8:9] offset:4096
	scratch_load_b64 v[21:22], off, off offset:192 th:TH_LOAD_LU ; 8-byte Folded Reload
	v_add_f64_e32 v[0:1], v[110:111], v[0:1]
	v_fma_f64 v[110:111], v[140:141], s[14:15], v[144:145]
	v_add_f64_e32 v[25:26], v[69:70], v[26:27]
	v_fma_f64 v[69:70], v[166:167], s[40:41], v[106:107]
	v_add_f64_e32 v[172:173], v[60:61], v[44:45]
	v_add_f64_e32 v[61:62], v[40:41], v[174:175]
	;; [unrolled: 1-line block ×4, first 2 shown]
	v_fma_f64 v[27:28], v[148:149], s[26:27], v[194:195]
	v_add_f64_e32 v[91:92], v[91:92], v[50:51]
	v_fma_f64 v[50:51], v[140:141], s[24:25], v[206:207]
	v_add_f64_e32 v[93:94], v[93:94], v[63:64]
	v_add_f64_e32 v[170:171], v[95:96], v[65:66]
	v_fma_f64 v[144:145], v[140:141], s[14:15], -v[144:145]
	v_add_f64_e32 v[95:96], v[190:191], v[124:125]
	v_add_f64_e32 v[110:111], v[110:111], v[0:1]
	v_fma_f64 v[0:1], v[166:167], s[56:57], v[54:55]
	v_add_f64_e32 v[85:86], v[85:86], v[25:26]
	v_add_f64_e32 v[69:70], v[69:70], v[36:37]
	v_fma_f64 v[36:37], v[140:141], s[22:23], v[164:165]
	v_fma_f64 v[54:55], v[166:167], s[42:43], v[54:55]
	v_fma_f64 v[164:165], v[140:141], s[22:23], -v[164:165]
	v_add_f64_e32 v[6:7], v[27:28], v[6:7]
	v_add_f64_e32 v[97:98], v[50:51], v[87:88]
	v_fma_f64 v[87:88], v[154:155], s[26:27], -v[162:163]
	v_fma_f64 v[162:163], v[138:139], s[28:29], v[204:205]
	v_add_f64_e32 v[0:1], v[0:1], v[52:53]
	v_add_f64_e32 v[136:137], v[101:102], v[69:70]
	;; [unrolled: 1-line block ×7, first 2 shown]
	v_fma_f64 v[116:117], v[148:149], s[24:25], -v[160:161]
	v_fma_f64 v[118:119], v[148:149], s[22:23], -v[150:151]
	v_add_f64_e32 v[0:1], v[222:223], v[0:1]
	v_fma_f64 v[222:223], v[166:167], s[50:51], v[128:129]
	s_wait_loadcnt 0x0
	v_mul_f64_e32 v[73:74], v[110:111], v[21:22]
	v_mul_f64_e32 v[81:82], v[114:115], v[21:22]
	scratch_load_b64 v[21:22], off, off offset:172 th:TH_LOAD_LU ; 8-byte Folded Reload
	s_wait_loadcnt 0x0
	v_mul_f64_e32 v[63:64], v[112:113], v[21:22]
	v_mul_f64_e32 v[230:231], v[85:86], v[21:22]
	s_clause 0x7
	global_load_b128 v[21:24], v184, s[8:9]
	global_load_b128 v[25:28], v185, s[8:9] offset:4096
	global_load_b128 v[29:32], v232, s[8:9]
	global_load_b128 v[33:36], v233, s[8:9] offset:4096
	;; [unrolled: 2-line block ×4, first 2 shown]
	scratch_store_b64 off, v[0:1], off offset:172 ; 8-byte Folded Spill
	s_clause 0x1
	global_load_b128 v[53:56], v238, s[8:9]
	global_load_b128 v[57:60], v8, s[8:9] offset:4096
	scratch_load_b64 v[0:1], off, off offset:200 th:TH_LOAD_LU ; 8-byte Folded Reload
	v_add_f64_e32 v[184:185], v[99:100], v[89:90]
	v_add_f64_e32 v[89:90], v[126:127], v[91:92]
	;; [unrolled: 1-line block ×4, first 2 shown]
	v_and_b32_e32 v61, 0xff, v242
	v_lshrrev_b32_e32 v62, 4, v242
	v_fma_f64 v[232:233], v[154:155], s[10:11], -v[79:80]
	v_add_f64_e32 v[99:100], v[122:123], v[83:84]
	v_fma_f64 v[234:235], v[166:167], s[52:53], v[106:107]
	v_lshlrev_b32_e32 v242, 4, v61
	v_fma_f64 v[224:225], v[166:167], s[28:29], v[120:121]
	v_fma_f64 v[126:127], v[140:141], s[34:35], -v[216:217]
	v_fma_f64 v[122:123], v[138:139], s[44:45], v[218:219]
	v_add_f64_e32 v[232:233], v[232:233], v[132:133]
	v_fma_f64 v[132:133], v[140:141], s[30:31], -v[210:211]
	v_add_f64_e32 v[210:211], v[116:117], v[226:227]
	v_add_f64_e32 v[116:117], v[202:203], v[184:185]
	s_delay_alu instid0(VALU_DEP_4)
	v_add_f64_e32 v[9:10], v[9:10], v[232:233]
	s_wait_loadcnt 0x9
	v_mul_f64_e32 v[120:121], v[21:22], v[27:28]
	s_wait_loadcnt 0x7
	v_mul_f64_e32 v[124:125], v[29:30], v[35:36]
	;; [unrolled: 2-line block ×4, first 2 shown]
	v_mul_f64_e32 v[35:36], v[31:32], v[35:36]
	v_mul_f64_e32 v[27:28], v[23:24], v[27:28]
	s_wait_loadcnt 0x0
	v_add_f64_e32 v[238:239], v[228:229], v[0:1]
	s_clause 0x1
	global_load_b128 v[0:3], v243, s[8:9]
	global_load_b128 v[65:68], v246, s[8:9] offset:4096
	scratch_load_b64 v[4:5], off, off offset:4 th:TH_LOAD_LU ; 8-byte Folded Reload
	v_and_b32_e32 v243, 0xff0, v62
	v_add_f64_e32 v[228:229], v[77:78], v[130:131]
	v_fma_f64 v[61:62], v[166:167], s[38:39], v[186:187]
	v_fma_f64 v[130:131], v[138:139], s[42:43], v[208:209]
	v_mul_f64_e32 v[204:205], v[53:54], v[59:60]
	v_fma_f64 v[29:30], v[29:30], v[33:34], -v[35:36]
	s_wait_loadcnt 0x1
	v_mul_f64_e32 v[208:209], v[0:1], v[67:68]
	s_wait_loadcnt 0x0
	v_fma_f64 v[6:7], v[114:115], v[4:5], v[73:74]
	v_fma_f64 v[4:5], v[110:111], v[4:5], -v[81:82]
	v_fma_f64 v[114:115], v[148:149], s[26:27], -v[194:195]
	v_fma_f64 v[194:195], v[140:141], s[24:25], -v[206:207]
	v_add_f64_e32 v[148:149], v[222:223], v[228:229]
	scratch_store_b128 off, v[4:7], off offset:4 ; 16-byte Folded Spill
	s_clause 0x1
	global_load_b128 v[69:72], v247, s[8:9]
	global_load_b128 v[73:76], v248, s[8:9] offset:4096
	scratch_load_b64 v[4:5], off, off offset:52 th:TH_LOAD_LU ; 8-byte Folded Reload
	v_add_f64_e32 v[114:115], v[114:115], v[212:213]
	s_wait_loadcnt 0x1
	v_mul_f64_e32 v[212:213], v[69:70], v[75:76]
	s_wait_loadcnt 0x0
	v_fma_f64 v[6:7], v[85:86], v[4:5], v[63:64]
	v_fma_f64 v[4:5], v[112:113], v[4:5], -v[230:231]
	v_fma_f64 v[63:64], v[168:169], s[40:41], v[188:189]
	v_add_f64_e32 v[230:231], v[240:241], v[192:193]
	scratch_store_b128 off, v[4:7], off offset:52 ; 16-byte Folded Spill
	v_dual_mov_b32 v5, v251 :: v_dual_add_nc_u32 v4, 17, v251
	s_clause 0x3
	global_load_b128 v[77:80], v249, s[8:9]
	global_load_b128 v[81:84], v250, s[8:9] offset:4096
	global_load_b128 v[246:249], v242, s[8:9]
	global_load_b128 v[250:253], v243, s[8:9] offset:4096
	scratch_load_b64 v[6:7], off, off offset:116 th:TH_LOAD_LU ; 8-byte Folded Reload
	v_mul_lo_u32 v4, v200, v4
	v_add_f64_e32 v[206:207], v[224:225], v[230:231]
	s_delay_alu instid0(VALU_DEP_2)
	v_and_b32_e32 v244, 0xff, v4
	v_lshrrev_b32_e32 v245, 4, v4
	v_mul_lo_u32 v4, v200, v5
	v_fma_f64 v[200:201], v[138:139], s[40:41], v[254:255]
	v_add_f64_e32 v[138:139], v[122:123], v[178:179]
	v_lshlrev_b32_e32 v105, 4, v244
	v_and_b32_e32 v106, 0xff0, v245
	s_clause 0x1
	global_load_b128 v[166:169], v105, s[8:9]
	global_load_b128 v[186:189], v106, s[8:9] offset:4096
	v_add_f64_e32 v[122:123], v[194:195], v[176:177]
	s_wait_loadcnt 0x5
	v_mul_f64_e32 v[176:177], v[79:80], v[83:84]
	s_wait_loadcnt 0x3
	v_mul_f64_e32 v[178:179], v[248:249], v[252:253]
	s_wait_loadcnt 0x2
	v_add_f64_e32 v[85:86], v[6:7], v[11:12]
	scratch_load_b64 v[6:7], off, off offset:132 th:TH_LOAD_LU ; 8-byte Folded Reload
	v_and_b32_e32 v11, 0xff, v4
	v_lshrrev_b32_e32 v4, 4, v4
	s_delay_alu instid0(VALU_DEP_2) | instskip(NEXT) | instid1(VALU_DEP_2)
	v_lshlrev_b32_e32 v107, 4, v11
	v_and_b32_e32 v4, 0xff0, v4
	v_add_f64_e32 v[63:64], v[63:64], v[85:86]
	v_mul_f64_e32 v[85:86], v[13:14], v[19:20]
	v_mul_f64_e32 v[19:20], v[15:16], v[19:20]
	s_delay_alu instid0(VALU_DEP_3) | instskip(NEXT) | instid1(VALU_DEP_3)
	v_add_f64_e32 v[61:62], v[61:62], v[63:64]
	v_fma_f64 v[15:16], v[15:16], v[17:18], v[85:86]
	v_fma_f64 v[85:86], v[140:141], s[10:11], -v[152:153]
	v_add_f64_e32 v[140:141], v[126:127], v[172:173]
	v_fma_f64 v[126:127], v[39:40], v[41:42], v[128:129]
	v_add_f64_e32 v[128:129], v[132:133], v[174:175]
	v_fma_f64 v[132:133], v[47:48], v[49:50], v[160:161]
	v_mul_f64_e32 v[172:173], v[55:56], v[59:60]
	v_mul_f64_e32 v[63:64], v[246:247], v[252:253]
	v_fma_f64 v[174:175], v[55:56], v[57:58], v[204:205]
	v_add_f64_e32 v[55:56], v[158:159], v[148:149]
	v_fma_f64 v[158:159], v[13:14], v[17:18], -v[19:20]
	s_wait_loadcnt 0x1
	v_mul_f64_e32 v[152:153], v[166:167], v[188:189]
	v_mul_f64_e32 v[160:161], v[99:100], v[15:16]
	;; [unrolled: 1-line block ×3, first 2 shown]
	s_wait_loadcnt 0x0
	v_add_f64_e32 v[105:106], v[6:7], v[156:157]
	scratch_load_b64 v[6:7], off, off offset:164 th:TH_LOAD_LU ; 8-byte Folded Reload
	v_add_f64_e32 v[87:88], v[87:88], v[105:106]
	s_delay_alu instid0(VALU_DEP_1)
	v_add_f64_e32 v[87:88], v[118:119], v[87:88]
	v_fma_f64 v[118:119], v[23:24], v[25:26], v[120:121]
	v_fma_f64 v[120:121], v[31:32], v[33:34], v[124:125]
	v_mul_f64_e32 v[124:125], v[39:40], v[43:44]
	v_add_f64_e32 v[39:40], v[130:131], v[180:181]
	v_mul_f64_e32 v[130:131], v[47:48], v[51:52]
	v_add_f64_e32 v[47:48], v[200:201], v[170:171]
	v_mul_f64_e32 v[170:171], v[2:3], v[67:68]
	v_fma_f64 v[2:3], v[2:3], v[65:66], v[208:209]
	v_fma_f64 v[25:26], v[21:22], v[25:26], -v[27:28]
	v_mul_f64_e32 v[180:181], v[168:169], v[188:189]
	v_add_f64_e32 v[67:68], v[142:143], v[61:62]
	v_fma_f64 v[168:169], v[168:169], v[186:187], v[152:153]
	v_add_f64_e32 v[43:44], v[162:163], v[93:94]
	v_mul_f64_e32 v[142:143], v[128:129], v[132:133]
	v_mul_f64_e32 v[27:28], v[95:96], v[118:119]
	;; [unrolled: 1-line block ×3, first 2 shown]
	v_fma_f64 v[33:34], v[37:38], v[41:42], -v[124:125]
	v_fma_f64 v[41:42], v[53:54], v[57:58], -v[172:173]
	;; [unrolled: 1-line block ×5, first 2 shown]
	v_mul_f64_e32 v[124:125], v[116:117], v[2:3]
	v_mul_f64_e32 v[130:131], v[122:123], v[174:175]
	v_fma_f64 v[61:62], v[166:167], v[186:187], -v[180:181]
	v_mul_f64_e32 v[65:66], v[168:169], v[67:68]
	v_fma_f64 v[27:28], v[89:90], v[25:26], v[27:28]
	v_fma_f64 v[25:26], v[95:96], v[25:26], -v[152:153]
	v_fma_f64 v[35:36], v[138:139], v[33:34], v[35:36]
	s_wait_loadcnt 0x0
	v_add_f64_e32 v[110:111], v[238:239], v[6:7]
	scratch_load_b64 v[6:7], off, off offset:124 th:TH_LOAD_LU ; 8-byte Folded Reload
	s_wait_loadcnt 0x0
	v_add_f64_e32 v[11:12], v[236:237], v[6:7]
	s_clause 0x1
	global_load_b128 v[236:239], v107, s[8:9]
	global_load_b128 v[242:245], v4, s[8:9] offset:4096
	scratch_load_b64 v[6:7], off, off offset:156 th:TH_LOAD_LU ; 8-byte Folded Reload
	s_mul_u64 s[8:9], s[46:47], s[20:21]
	s_clause 0x2
	scratch_load_b64 v[240:241], off, off offset:84 th:TH_LOAD_LU
	scratch_load_b64 v[105:106], off, off offset:68 th:TH_LOAD_LU
	scratch_load_b32 v0, off, off offset:188 th:TH_LOAD_LU
	s_wait_loadcnt 0x3
	v_add_f64_e32 v[112:113], v[11:12], v[6:7]
	scratch_load_b64 v[6:7], off, off offset:92 th:TH_LOAD_LU ; 8-byte Folded Reload
	s_wait_loadcnt 0x2
	v_mul_f64_e32 v[150:151], v[103:104], v[105:106]
	v_mul_f64_e32 v[154:155], v[101:102], v[105:106]
	v_add_f64_e32 v[105:106], v[234:235], v[214:215]
	v_mul_f64_e32 v[214:215], v[77:78], v[83:84]
	v_add_f64_e32 v[83:84], v[164:165], v[9:10]
	scratch_load_b64 v[9:10], off, off offset:44 th:TH_LOAD_LU ; 8-byte Folded Reload
	v_fma_f64 v[77:78], v[246:247], v[250:251], -v[178:179]
	s_wait_loadcnt 0x2
	v_and_b32_e32 v21, 0xffff, v0
	v_add_f64_e32 v[51:52], v[196:197], v[105:106]
	v_mul_f64_e32 v[105:106], v[71:72], v[75:76]
	v_add_f64_e32 v[75:76], v[146:147], v[206:207]
	v_mul_f64_e32 v[146:147], v[138:139], v[126:127]
	v_mul_f64_e32 v[126:127], v[47:48], v[2:3]
	v_fma_f64 v[164:165], v[79:80], v[81:82], v[214:215]
	v_add_f64_e32 v[79:80], v[85:86], v[210:211]
	v_fma_f64 v[85:86], v[248:249], v[250:251], v[63:64]
	v_add_f64_e32 v[63:64], v[144:145], v[87:88]
	v_mul_f64_e32 v[87:88], v[238:239], v[244:245]
	v_mul_f64_e32 v[144:145], v[39:40], v[132:133]
	;; [unrolled: 1-line block ×3, first 2 shown]
	v_fma_f64 v[47:48], v[47:48], v[45:46], v[124:125]
	v_fma_f64 v[43:44], v[43:44], v[41:42], v[130:131]
	;; [unrolled: 1-line block ×3, first 2 shown]
	scratch_load_b64 v[1:2], off, off offset:36 th:TH_LOAD_LU ; 8-byte Folded Reload
	v_fma_f64 v[49:50], v[69:70], v[73:74], -v[105:106]
	v_fma_f64 v[33:34], v[140:141], v[33:34], -v[146:147]
	;; [unrolled: 1-line block ×3, first 2 shown]
	v_mul_f64_e32 v[81:82], v[79:80], v[85:86]
	v_mul_f64_e32 v[69:70], v[168:169], v[63:64]
	v_fma_f64 v[57:58], v[236:237], v[242:243], -v[87:88]
	v_mul_f64_e32 v[105:106], v[75:76], v[85:86]
	v_fma_f64 v[65:66], v[61:62], v[63:64], -v[65:66]
	v_fma_f64 v[41:42], v[122:123], v[41:42], -v[132:133]
	;; [unrolled: 1-line block ×3, first 2 shown]
	scratch_load_b32 v87, off, off th:TH_LOAD_LU ; 4-byte Folded Reload
	v_fma_f64 v[81:82], v[75:76], v[77:78], v[81:82]
	v_fma_f64 v[67:68], v[61:62], v[67:68], v[69:70]
	v_fma_f64 v[79:80], v[79:80], v[77:78], -v[105:106]
	s_wait_loadcnt 0x3
	v_mul_f64_e32 v[11:12], v[134:135], v[6:7]
	v_mul_f64_e32 v[190:191], v[220:221], v[6:7]
	scratch_load_b64 v[6:7], off, off offset:76 th:TH_LOAD_LU ; 8-byte Folded Reload
	v_fma_f64 v[11:12], v[220:221], v[240:241], v[11:12]
	s_wait_loadcnt 0x0
	v_mul_f64_e32 v[192:193], v[108:109], v[6:7]
	v_mul_f64_e32 v[156:157], v[136:137], v[6:7]
	scratch_load_b64 v[6:7], off, off offset:148 th:TH_LOAD_LU ; 8-byte Folded Reload
	v_fma_f64 v[13:14], v[108:109], v[1:2], -v[156:157]
	s_wait_loadcnt 0x0
	v_add_f64_e32 v[112:113], v[112:113], v[6:7]
	scratch_load_b64 v[6:7], off, off offset:140 th:TH_LOAD_LU ; 8-byte Folded Reload
	s_wait_loadcnt 0x0
	v_add_f64_e32 v[110:111], v[110:111], v[6:7]
	scratch_load_b64 v[6:7], off, off offset:108 th:TH_LOAD_LU ; 8-byte Folded Reload
	;; [unrolled: 3-line block ×3, first 2 shown]
	v_mul_f64_e32 v[112:113], v[236:237], v[244:245]
	v_add_f64_e32 v[59:60], v[23:24], v[9:10]
	scratch_load_b64 v[9:10], off, off offset:28 th:TH_LOAD_LU ; 8-byte Folded Reload
	v_mul_f64_e32 v[23:24], v[97:98], v[15:16]
	v_fma_f64 v[15:16], v[136:137], v[1:2], v[192:193]
	scratch_load_b64 v[0:1], off, off offset:20 th:TH_LOAD_LU ; 8-byte Folded Reload
	v_fma_f64 v[162:163], v[238:239], v[242:243], v[112:113]
	v_mul_f64_e32 v[112:113], v[55:56], v[164:165]
	v_fma_f64 v[23:24], v[99:100], v[158:159], v[23:24]
	s_wait_loadcnt 0x2
	v_add_f64_e32 v[31:32], v[110:111], v[6:7]
	v_dual_mov_b32 v6, v91 :: v_dual_mov_b32 v7, v92
	scratch_load_b64 v[91:92], off, off offset:172 th:TH_LOAD_LU ; 8-byte Folded Reload
	v_add_f64_e32 v[110:111], v[198:199], v[114:115]
	v_fma_f64 v[114:115], v[71:72], v[73:74], v[212:213]
	v_mul_f64_e32 v[73:74], v[59:60], v[162:163]
	s_wait_loadcnt 0x2
	v_add_f64_e32 v[71:72], v[31:32], v[9:10]
	v_mul_f64_e32 v[31:32], v[6:7], v[120:121]
	v_fma_f64 v[9:10], v[134:135], v[240:241], -v[190:191]
	s_wait_loadcnt 0x1
	v_fma_f64 v[19:20], v[101:102], v[0:1], v[150:151]
	v_fma_f64 v[17:18], v[103:104], v[0:1], -v[154:155]
	v_mul_u32_u24_e32 v0, 0x227, v21
	v_mad_co_u64_u32 v[1:2], null, s6, v87, 0
	v_mul_f64_e32 v[118:119], v[110:111], v[114:115]
	v_fma_f64 v[21:22], v[97:98], v[158:159], -v[160:161]
	s_delay_alu instid0(VALU_DEP_4) | instskip(NEXT) | instid1(VALU_DEP_1)
	v_lshrrev_b32_e32 v0, 16, v0
	v_mul_lo_u16 v0, 0x121, v0
	s_delay_alu instid0(VALU_DEP_1) | instskip(NEXT) | instid1(VALU_DEP_1)
	v_and_b32_e32 v0, 0xffff, v0
	v_add_nc_u32_e32 v0, v5, v0
	s_delay_alu instid0(VALU_DEP_1)
	v_mad_co_u64_u32 v[3:4], null, s4, v0, 0
	v_add_nc_u32_e32 v75, 51, v0
	v_mul_f64_e32 v[85:86], v[71:72], v[162:163]
	v_fma_f64 v[61:62], v[71:72], v[57:58], v[73:74]
	v_add_nc_u32_e32 v74, 34, v0
	v_mad_co_u64_u32 v[63:64], null, s7, v87, v[2:3]
	v_mad_co_u64_u32 v[69:70], null, s5, v0, v[4:5]
	s_lshl_b64 s[6:7], s[8:9], 4
	s_delay_alu instid0(VALU_DEP_3) | instskip(SKIP_3) | instid1(VALU_DEP_4)
	v_mad_co_u64_u32 v[72:73], null, s4, v74, 0
	v_add_nc_u32_e32 v64, 17, v0
	s_wait_alu 0xfffe
	s_add_nc_u64 s[0:1], s[0:1], s[6:7]
	v_mov_b32_e32 v2, v63
	s_delay_alu instid0(VALU_DEP_4) | instskip(SKIP_2) | instid1(VALU_DEP_3)
	v_mov_b32_e32 v4, v69
	s_add_nc_u64 s[0:1], s[0:1], s[2:3]
	v_mad_co_u64_u32 v[70:71], null, s4, v64, 0
	v_lshlrev_b64_e32 v[1:2], 4, v[1:2]
	v_fma_f64 v[59:60], v[59:60], v[57:58], -v[85:86]
	s_delay_alu instid0(VALU_DEP_3) | instskip(NEXT) | instid1(VALU_DEP_1)
	v_mov_b32_e32 v57, v71
	v_mad_co_u64_u32 v[63:64], null, s5, v64, v[57:58]
	s_delay_alu instid0(VALU_DEP_4)
	v_add_co_u32 v57, vcc_lo, s0, v1
	s_wait_alu 0xfffd
	v_add_co_ci_u32_e32 v58, vcc_lo, s1, v2, vcc_lo
	v_lshlrev_b64_e32 v[1:2], 4, v[3:4]
	v_mov_b32_e32 v3, v73
	v_mov_b32_e32 v71, v63
	v_mad_co_u64_u32 v[63:64], null, s4, v75, 0
	s_delay_alu instid0(VALU_DEP_4) | instskip(NEXT) | instid1(VALU_DEP_4)
	v_add_co_u32 v1, vcc_lo, v57, v1
	v_mad_co_u64_u32 v[3:4], null, s5, v74, v[3:4]
	s_wait_alu 0xfffd
	v_add_co_ci_u32_e32 v2, vcc_lo, v58, v2, vcc_lo
	v_lshlrev_b64_e32 v[69:70], 4, v[70:71]
	v_dual_mov_b32 v4, v64 :: v_dual_add_nc_u32 v71, 0x44, v0
	s_delay_alu instid0(VALU_DEP_4) | instskip(NEXT) | instid1(VALU_DEP_3)
	v_mov_b32_e32 v73, v3
	v_add_co_u32 v69, vcc_lo, v57, v69
	s_wait_alu 0xfffd
	s_delay_alu instid0(VALU_DEP_4)
	v_add_co_ci_u32_e32 v70, vcc_lo, v58, v70, vcc_lo
	v_mad_co_u64_u32 v[74:75], null, s5, v75, v[4:5]
	v_mad_co_u64_u32 v[75:76], null, s4, v71, 0
	global_store_b128 v[1:2], v[59:62], off
	v_lshlrev_b64_e32 v[1:2], 4, v[72:73]
	global_store_b128 v[69:70], v[65:68], off
	v_dual_mov_b32 v64, v74 :: v_dual_add_nc_u32 v65, 0x55, v0
	v_mov_b32_e32 v3, v76
	v_add_co_u32 v1, vcc_lo, v57, v1
	s_wait_alu 0xfffd
	v_add_co_ci_u32_e32 v2, vcc_lo, v58, v2, vcc_lo
	v_mad_co_u64_u32 v[59:60], null, s4, v65, 0
	v_lshlrev_b64_e32 v[61:62], 4, v[63:64]
	v_add_nc_u32_e32 v64, 0x66, v0
	global_store_b128 v[1:2], v[79:82], off
	v_mad_co_u64_u32 v[3:4], null, s5, v71, v[3:4]
	v_mov_b32_e32 v4, v60
	v_add_co_u32 v60, vcc_lo, v57, v61
	s_wait_alu 0xfffd
	v_add_co_ci_u32_e32 v61, vcc_lo, v58, v62, vcc_lo
	v_mad_co_u64_u32 v[62:63], null, s4, v64, 0
	v_mov_b32_e32 v76, v3
	v_mad_co_u64_u32 v[3:4], null, s5, v65, v[4:5]
                                        ; kill: def $vgpr4 killed $sgpr0 killed $exec
	s_delay_alu instid0(VALU_DEP_2) | instskip(NEXT) | instid1(VALU_DEP_1)
	v_lshlrev_b64_e32 v[1:2], 4, v[75:76]
	v_add_co_u32 v1, vcc_lo, v57, v1
	s_wait_alu 0xfffd
	s_delay_alu instid0(VALU_DEP_2)
	v_add_co_ci_u32_e32 v2, vcc_lo, v58, v2, vcc_lo
	s_wait_loadcnt 0x0
	v_mul_f64_e32 v[148:149], v[91:92], v[120:121]
	v_mul_f64_e32 v[120:121], v[51:52], v[114:115]
	;; [unrolled: 1-line block ×3, first 2 shown]
	v_fma_f64 v[51:52], v[51:52], v[49:50], v[118:119]
	v_fma_f64 v[31:32], v[91:92], v[29:30], v[31:32]
	v_fma_f64 v[29:30], v[6:7], v[29:30], -v[148:149]
	v_fma_f64 v[49:50], v[110:111], v[49:50], -v[120:121]
	v_fma_f64 v[55:56], v[55:56], v[53:54], v[114:115]
	v_fma_f64 v[53:54], v[83:84], v[53:54], -v[112:113]
	global_store_b128 v[60:61], v[53:56], off
	v_dual_mov_b32 v60, v3 :: v_dual_mov_b32 v3, v63
	v_add_nc_u32_e32 v61, 0x77, v0
	global_store_b128 v[1:2], v[49:52], off
	v_add_nc_u32_e32 v49, 0x99, v0
	v_lshlrev_b64_e32 v[53:54], 4, v[59:60]
	v_mad_co_u64_u32 v[3:4], null, s5, v64, v[3:4]
	v_mad_co_u64_u32 v[55:56], null, s4, v61, 0
	v_add_nc_u32_e32 v50, 0xaa, v0
	s_delay_alu instid0(VALU_DEP_4)
	v_add_co_u32 v53, vcc_lo, v57, v53
	s_wait_alu 0xfffd
	v_add_co_ci_u32_e32 v54, vcc_lo, v58, v54, vcc_lo
	v_mov_b32_e32 v63, v3
	v_mov_b32_e32 v1, v56
	global_store_b128 v[53:54], v[45:48], off
	v_add_nc_u32_e32 v48, 0x88, v0
	v_lshlrev_b64_e32 v[2:3], 4, v[62:63]
	s_delay_alu instid0(VALU_DEP_1) | instskip(SKIP_1) | instid1(VALU_DEP_4)
	v_mad_co_u64_u32 v[45:46], null, s5, v61, v[1:2]
	v_add_co_u32 v1, vcc_lo, v57, v2
	v_mad_co_u64_u32 v[46:47], null, s4, v48, 0
	s_wait_alu 0xfffd
	s_delay_alu instid0(VALU_DEP_4)
	v_add_co_ci_u32_e32 v2, vcc_lo, v58, v3, vcc_lo
	v_mad_co_u64_u32 v[3:4], null, s4, v49, 0
	v_mov_b32_e32 v56, v45
	global_store_b128 v[1:2], v[41:44], off
	v_mov_b32_e32 v45, v47
	v_lshlrev_b64_e32 v[1:2], 4, v[55:56]
	s_delay_alu instid0(VALU_DEP_2) | instskip(SKIP_2) | instid1(VALU_DEP_4)
	v_mad_co_u64_u32 v[41:42], null, s5, v48, v[45:46]
	v_mad_co_u64_u32 v[44:45], null, s5, v49, v[4:5]
	;; [unrolled: 1-line block ×3, first 2 shown]
	v_add_co_u32 v1, vcc_lo, v57, v1
	s_wait_alu 0xfffd
	v_add_co_ci_u32_e32 v2, vcc_lo, v58, v2, vcc_lo
	v_mov_b32_e32 v47, v41
	s_delay_alu instid0(VALU_DEP_4)
	v_dual_mov_b32 v4, v43 :: v_dual_add_nc_u32 v41, 0xbb, v0
	global_store_b128 v[1:2], v[37:40], off
	v_lshlrev_b64_e32 v[1:2], 4, v[46:47]
	v_mad_co_u64_u32 v[48:49], null, s4, v41, 0
	v_mad_co_u64_u32 v[37:38], null, s5, v50, v[4:5]
	v_mov_b32_e32 v4, v44
	s_delay_alu instid0(VALU_DEP_4) | instskip(SKIP_2) | instid1(VALU_DEP_4)
	v_add_co_u32 v1, vcc_lo, v57, v1
	s_wait_alu 0xfffd
	v_add_co_ci_u32_e32 v2, vcc_lo, v58, v2, vcc_lo
	v_dual_mov_b32 v38, v49 :: v_dual_mov_b32 v43, v37
	v_lshlrev_b64_e32 v[3:4], 4, v[3:4]
	global_store_b128 v[1:2], v[33:36], off
	v_mad_co_u64_u32 v[37:38], null, s5, v41, v[38:39]
	v_add_nc_u32_e32 v38, 0xcc, v0
	v_lshlrev_b64_e32 v[1:2], 4, v[42:43]
	v_add_co_u32 v3, vcc_lo, v57, v3
	s_wait_alu 0xfffd
	v_add_co_ci_u32_e32 v4, vcc_lo, v58, v4, vcc_lo
	v_mov_b32_e32 v49, v37
	v_mad_co_u64_u32 v[33:34], null, s4, v38, 0
	v_add_co_u32 v1, vcc_lo, v57, v1
	s_delay_alu instid0(VALU_DEP_3)
	v_lshlrev_b64_e32 v[35:36], 4, v[48:49]
	s_wait_alu 0xfffd
	v_add_co_ci_u32_e32 v2, vcc_lo, v58, v2, vcc_lo
	s_clause 0x1
	global_store_b128 v[3:4], v[29:32], off
	global_store_b128 v[1:2], v[25:28], off
	v_mov_b32_e32 v1, v34
	v_add_co_u32 v2, vcc_lo, v57, v35
	v_add_nc_u32_e32 v4, 0xdd, v0
	s_wait_alu 0xfffd
	v_add_co_ci_u32_e32 v3, vcc_lo, v58, v36, vcc_lo
	s_delay_alu instid0(VALU_DEP_3) | instskip(NEXT) | instid1(VALU_DEP_3)
	v_mad_co_u64_u32 v[25:26], null, s5, v38, v[1:2]
	v_mad_co_u64_u32 v[26:27], null, s4, v4, 0
	v_add_nc_u32_e32 v28, 0xee, v0
	global_store_b128 v[2:3], v[21:24], off
	v_dual_mov_b32 v34, v25 :: v_dual_add_nc_u32 v31, 0xff, v0
	v_mad_co_u64_u32 v[1:2], null, s4, v28, 0
	v_mov_b32_e32 v3, v27
	s_delay_alu instid0(VALU_DEP_3) | instskip(NEXT) | instid1(VALU_DEP_4)
	v_mad_co_u64_u32 v[21:22], null, s4, v31, 0
	v_lshlrev_b64_e32 v[23:24], 4, v[33:34]
	v_add_nc_u32_e32 v25, 0x110, v0
	s_delay_alu instid0(VALU_DEP_4) | instskip(NEXT) | instid1(VALU_DEP_4)
	v_mad_co_u64_u32 v[3:4], null, s5, v4, v[3:4]
	v_mov_b32_e32 v0, v22
	s_delay_alu instid0(VALU_DEP_4) | instskip(SKIP_2) | instid1(VALU_DEP_4)
	v_add_co_u32 v22, vcc_lo, v57, v23
	s_wait_alu 0xfffd
	v_add_co_ci_u32_e32 v23, vcc_lo, v58, v24, vcc_lo
	v_mad_co_u64_u32 v[28:29], null, s5, v28, v[2:3]
	v_mov_b32_e32 v27, v3
	v_mad_co_u64_u32 v[29:30], null, s4, v25, 0
	v_mad_co_u64_u32 v[3:4], null, s5, v31, v[0:1]
	global_store_b128 v[22:23], v[17:20], off
	v_mov_b32_e32 v2, v28
	v_lshlrev_b64_e32 v[17:18], 4, v[26:27]
	v_mov_b32_e32 v0, v30
	s_delay_alu instid0(VALU_DEP_3) | instskip(SKIP_1) | instid1(VALU_DEP_4)
	v_lshlrev_b64_e32 v[1:2], 4, v[1:2]
	v_mov_b32_e32 v22, v3
	v_add_co_u32 v3, vcc_lo, v57, v17
	s_wait_alu 0xfffd
	v_add_co_ci_u32_e32 v4, vcc_lo, v58, v18, vcc_lo
	s_delay_alu instid0(VALU_DEP_4)
	v_mad_co_u64_u32 v[19:20], null, s5, v25, v[0:1]
	v_add_co_u32 v0, vcc_lo, v57, v1
	s_wait_alu 0xfffd
	v_add_co_ci_u32_e32 v1, vcc_lo, v58, v2, vcc_lo
	s_clause 0x1
	global_store_b128 v[3:4], v[13:16], off
	global_store_b128 v[0:1], v[9:12], off
	scratch_load_b128 v[0:3], off, off offset:52 th:TH_LOAD_LU ; 16-byte Folded Reload
	v_lshlrev_b64_e32 v[17:18], 4, v[21:22]
	v_mov_b32_e32 v30, v19
	s_delay_alu instid0(VALU_DEP_2) | instskip(SKIP_1) | instid1(VALU_DEP_3)
	v_add_co_u32 v17, vcc_lo, v57, v17
	s_wait_alu 0xfffd
	v_add_co_ci_u32_e32 v18, vcc_lo, v58, v18, vcc_lo
	s_delay_alu instid0(VALU_DEP_3) | instskip(NEXT) | instid1(VALU_DEP_1)
	v_lshlrev_b64_e32 v[19:20], 4, v[29:30]
	v_add_co_u32 v19, vcc_lo, v57, v19
	s_wait_alu 0xfffd
	s_delay_alu instid0(VALU_DEP_2)
	v_add_co_ci_u32_e32 v20, vcc_lo, v58, v20, vcc_lo
	s_wait_loadcnt 0x0
	global_store_b128 v[17:18], v[0:3], off
	scratch_load_b128 v[0:3], off, off offset:4 th:TH_LOAD_LU ; 16-byte Folded Reload
	s_wait_loadcnt 0x0
	global_store_b128 v[19:20], v[0:3], off
.LBB0_48:
	s_endpgm
	.section	.rodata,"a",@progbits
	.p2align	6, 0x0
	.amdhsa_kernel fft_rtc_fwd_len289_factors_17_17_wgs_119_tpt_17_dp_op_CI_CI_sbcc_twdbase8_2step_dirReg_intrinsicRead
		.amdhsa_group_segment_fixed_size 0
		.amdhsa_private_segment_fixed_size 452
		.amdhsa_kernarg_size 112
		.amdhsa_user_sgpr_count 2
		.amdhsa_user_sgpr_dispatch_ptr 0
		.amdhsa_user_sgpr_queue_ptr 0
		.amdhsa_user_sgpr_kernarg_segment_ptr 1
		.amdhsa_user_sgpr_dispatch_id 0
		.amdhsa_user_sgpr_private_segment_size 0
		.amdhsa_wavefront_size32 1
		.amdhsa_uses_dynamic_stack 0
		.amdhsa_enable_private_segment 1
		.amdhsa_system_sgpr_workgroup_id_x 1
		.amdhsa_system_sgpr_workgroup_id_y 0
		.amdhsa_system_sgpr_workgroup_id_z 0
		.amdhsa_system_sgpr_workgroup_info 0
		.amdhsa_system_vgpr_workitem_id 0
		.amdhsa_next_free_vgpr 256
		.amdhsa_next_free_sgpr 67
		.amdhsa_reserve_vcc 1
		.amdhsa_float_round_mode_32 0
		.amdhsa_float_round_mode_16_64 0
		.amdhsa_float_denorm_mode_32 3
		.amdhsa_float_denorm_mode_16_64 3
		.amdhsa_fp16_overflow 0
		.amdhsa_workgroup_processor_mode 1
		.amdhsa_memory_ordered 1
		.amdhsa_forward_progress 0
		.amdhsa_round_robin_scheduling 0
		.amdhsa_exception_fp_ieee_invalid_op 0
		.amdhsa_exception_fp_denorm_src 0
		.amdhsa_exception_fp_ieee_div_zero 0
		.amdhsa_exception_fp_ieee_overflow 0
		.amdhsa_exception_fp_ieee_underflow 0
		.amdhsa_exception_fp_ieee_inexact 0
		.amdhsa_exception_int_div_zero 0
	.end_amdhsa_kernel
	.text
.Lfunc_end0:
	.size	fft_rtc_fwd_len289_factors_17_17_wgs_119_tpt_17_dp_op_CI_CI_sbcc_twdbase8_2step_dirReg_intrinsicRead, .Lfunc_end0-fft_rtc_fwd_len289_factors_17_17_wgs_119_tpt_17_dp_op_CI_CI_sbcc_twdbase8_2step_dirReg_intrinsicRead
                                        ; -- End function
	.section	.AMDGPU.csdata,"",@progbits
; Kernel info:
; codeLenInByte = 18984
; NumSgprs: 69
; NumVgprs: 256
; ScratchSize: 452
; MemoryBound: 0
; FloatMode: 240
; IeeeMode: 1
; LDSByteSize: 0 bytes/workgroup (compile time only)
; SGPRBlocks: 8
; VGPRBlocks: 31
; NumSGPRsForWavesPerEU: 69
; NumVGPRsForWavesPerEU: 256
; Occupancy: 5
; WaveLimiterHint : 1
; COMPUTE_PGM_RSRC2:SCRATCH_EN: 1
; COMPUTE_PGM_RSRC2:USER_SGPR: 2
; COMPUTE_PGM_RSRC2:TRAP_HANDLER: 0
; COMPUTE_PGM_RSRC2:TGID_X_EN: 1
; COMPUTE_PGM_RSRC2:TGID_Y_EN: 0
; COMPUTE_PGM_RSRC2:TGID_Z_EN: 0
; COMPUTE_PGM_RSRC2:TIDIG_COMP_CNT: 0
	.text
	.p2alignl 7, 3214868480
	.fill 96, 4, 3214868480
	.type	__hip_cuid_1a76a340cc39478e,@object ; @__hip_cuid_1a76a340cc39478e
	.section	.bss,"aw",@nobits
	.globl	__hip_cuid_1a76a340cc39478e
__hip_cuid_1a76a340cc39478e:
	.byte	0                               ; 0x0
	.size	__hip_cuid_1a76a340cc39478e, 1

	.ident	"AMD clang version 19.0.0git (https://github.com/RadeonOpenCompute/llvm-project roc-6.4.0 25133 c7fe45cf4b819c5991fe208aaa96edf142730f1d)"
	.section	".note.GNU-stack","",@progbits
	.addrsig
	.addrsig_sym __hip_cuid_1a76a340cc39478e
	.amdgpu_metadata
---
amdhsa.kernels:
  - .args:
      - .actual_access:  read_only
        .address_space:  global
        .offset:         0
        .size:           8
        .value_kind:     global_buffer
      - .address_space:  global
        .offset:         8
        .size:           8
        .value_kind:     global_buffer
      - .offset:         16
        .size:           8
        .value_kind:     by_value
      - .actual_access:  read_only
        .address_space:  global
        .offset:         24
        .size:           8
        .value_kind:     global_buffer
      - .actual_access:  read_only
        .address_space:  global
        .offset:         32
        .size:           8
        .value_kind:     global_buffer
      - .actual_access:  read_only
        .address_space:  global
        .offset:         40
        .size:           8
        .value_kind:     global_buffer
      - .offset:         48
        .size:           8
        .value_kind:     by_value
      - .actual_access:  read_only
        .address_space:  global
        .offset:         56
        .size:           8
        .value_kind:     global_buffer
      - .actual_access:  read_only
        .address_space:  global
        .offset:         64
        .size:           8
        .value_kind:     global_buffer
      - .offset:         72
        .size:           4
        .value_kind:     by_value
      - .actual_access:  read_only
        .address_space:  global
        .offset:         80
        .size:           8
        .value_kind:     global_buffer
      - .actual_access:  read_only
        .address_space:  global
        .offset:         88
        .size:           8
        .value_kind:     global_buffer
      - .actual_access:  read_only
        .address_space:  global
        .offset:         96
        .size:           8
        .value_kind:     global_buffer
      - .actual_access:  write_only
        .address_space:  global
        .offset:         104
        .size:           8
        .value_kind:     global_buffer
    .group_segment_fixed_size: 0
    .kernarg_segment_align: 8
    .kernarg_segment_size: 112
    .language:       OpenCL C
    .language_version:
      - 2
      - 0
    .max_flat_workgroup_size: 119
    .name:           fft_rtc_fwd_len289_factors_17_17_wgs_119_tpt_17_dp_op_CI_CI_sbcc_twdbase8_2step_dirReg_intrinsicRead
    .private_segment_fixed_size: 452
    .sgpr_count:     69
    .sgpr_spill_count: 0
    .symbol:         fft_rtc_fwd_len289_factors_17_17_wgs_119_tpt_17_dp_op_CI_CI_sbcc_twdbase8_2step_dirReg_intrinsicRead.kd
    .uniform_work_group_size: 1
    .uses_dynamic_stack: false
    .vgpr_count:     256
    .vgpr_spill_count: 159
    .wavefront_size: 32
    .workgroup_processor_mode: 1
amdhsa.target:   amdgcn-amd-amdhsa--gfx1201
amdhsa.version:
  - 1
  - 2
...

	.end_amdgpu_metadata
